;; amdgpu-corpus repo=ROCm/rocFFT kind=compiled arch=gfx1030 opt=O3
	.text
	.amdgcn_target "amdgcn-amd-amdhsa--gfx1030"
	.amdhsa_code_object_version 6
	.protected	fft_rtc_back_len2880_factors_10_6_6_2_2_2_wgs_96_tpt_96_halfLds_dp_op_CI_CI_unitstride_sbrr_C2R_dirReg ; -- Begin function fft_rtc_back_len2880_factors_10_6_6_2_2_2_wgs_96_tpt_96_halfLds_dp_op_CI_CI_unitstride_sbrr_C2R_dirReg
	.globl	fft_rtc_back_len2880_factors_10_6_6_2_2_2_wgs_96_tpt_96_halfLds_dp_op_CI_CI_unitstride_sbrr_C2R_dirReg
	.p2align	8
	.type	fft_rtc_back_len2880_factors_10_6_6_2_2_2_wgs_96_tpt_96_halfLds_dp_op_CI_CI_unitstride_sbrr_C2R_dirReg,@function
fft_rtc_back_len2880_factors_10_6_6_2_2_2_wgs_96_tpt_96_halfLds_dp_op_CI_CI_unitstride_sbrr_C2R_dirReg: ; @fft_rtc_back_len2880_factors_10_6_6_2_2_2_wgs_96_tpt_96_halfLds_dp_op_CI_CI_unitstride_sbrr_C2R_dirReg
; %bb.0:
	s_clause 0x2
	s_load_dwordx4 s[12:15], s[4:5], 0x0
	s_load_dwordx4 s[8:11], s[4:5], 0x58
	;; [unrolled: 1-line block ×3, first 2 shown]
	v_mul_u32_u24_e32 v1, 0x2ab, v0
	v_mov_b32_e32 v3, 0
	v_add_nc_u32_sdwa v5, s6, v1 dst_sel:DWORD dst_unused:UNUSED_PAD src0_sel:DWORD src1_sel:WORD_1
	v_mov_b32_e32 v1, 0
	v_mov_b32_e32 v6, v3
	v_mov_b32_e32 v2, 0
	s_waitcnt lgkmcnt(0)
	v_cmp_lt_u64_e64 s0, s[14:15], 2
	s_and_b32 vcc_lo, exec_lo, s0
	s_cbranch_vccnz .LBB0_8
; %bb.1:
	s_load_dwordx2 s[0:1], s[4:5], 0x10
	v_mov_b32_e32 v1, 0
	v_mov_b32_e32 v2, 0
	s_add_u32 s2, s18, 8
	s_addc_u32 s3, s19, 0
	s_add_u32 s6, s16, 8
	s_addc_u32 s7, s17, 0
	v_mov_b32_e32 v123, v2
	v_mov_b32_e32 v122, v1
	s_mov_b64 s[22:23], 1
	s_waitcnt lgkmcnt(0)
	s_add_u32 s20, s0, 8
	s_addc_u32 s21, s1, 0
.LBB0_2:                                ; =>This Inner Loop Header: Depth=1
	s_load_dwordx2 s[24:25], s[20:21], 0x0
                                        ; implicit-def: $vgpr124_vgpr125
	s_mov_b32 s0, exec_lo
	s_waitcnt lgkmcnt(0)
	v_or_b32_e32 v4, s25, v6
	v_cmpx_ne_u64_e32 0, v[3:4]
	s_xor_b32 s1, exec_lo, s0
	s_cbranch_execz .LBB0_4
; %bb.3:                                ;   in Loop: Header=BB0_2 Depth=1
	v_cvt_f32_u32_e32 v4, s24
	v_cvt_f32_u32_e32 v7, s25
	s_sub_u32 s0, 0, s24
	s_subb_u32 s26, 0, s25
	v_fmac_f32_e32 v4, 0x4f800000, v7
	v_rcp_f32_e32 v4, v4
	v_mul_f32_e32 v4, 0x5f7ffffc, v4
	v_mul_f32_e32 v7, 0x2f800000, v4
	v_trunc_f32_e32 v7, v7
	v_fmac_f32_e32 v4, 0xcf800000, v7
	v_cvt_u32_f32_e32 v7, v7
	v_cvt_u32_f32_e32 v4, v4
	v_mul_lo_u32 v8, s0, v7
	v_mul_hi_u32 v9, s0, v4
	v_mul_lo_u32 v10, s26, v4
	v_add_nc_u32_e32 v8, v9, v8
	v_mul_lo_u32 v9, s0, v4
	v_add_nc_u32_e32 v8, v8, v10
	v_mul_hi_u32 v10, v4, v9
	v_mul_lo_u32 v11, v4, v8
	v_mul_hi_u32 v12, v4, v8
	v_mul_hi_u32 v13, v7, v9
	v_mul_lo_u32 v9, v7, v9
	v_mul_hi_u32 v14, v7, v8
	v_mul_lo_u32 v8, v7, v8
	v_add_co_u32 v10, vcc_lo, v10, v11
	v_add_co_ci_u32_e32 v11, vcc_lo, 0, v12, vcc_lo
	v_add_co_u32 v9, vcc_lo, v10, v9
	v_add_co_ci_u32_e32 v9, vcc_lo, v11, v13, vcc_lo
	v_add_co_ci_u32_e32 v10, vcc_lo, 0, v14, vcc_lo
	v_add_co_u32 v8, vcc_lo, v9, v8
	v_add_co_ci_u32_e32 v9, vcc_lo, 0, v10, vcc_lo
	v_add_co_u32 v4, vcc_lo, v4, v8
	v_add_co_ci_u32_e32 v7, vcc_lo, v7, v9, vcc_lo
	v_mul_hi_u32 v8, s0, v4
	v_mul_lo_u32 v10, s26, v4
	v_mul_lo_u32 v9, s0, v7
	v_add_nc_u32_e32 v8, v8, v9
	v_mul_lo_u32 v9, s0, v4
	v_add_nc_u32_e32 v8, v8, v10
	v_mul_hi_u32 v10, v4, v9
	v_mul_lo_u32 v11, v4, v8
	v_mul_hi_u32 v12, v4, v8
	v_mul_hi_u32 v13, v7, v9
	v_mul_lo_u32 v9, v7, v9
	v_mul_hi_u32 v14, v7, v8
	v_mul_lo_u32 v8, v7, v8
	v_add_co_u32 v10, vcc_lo, v10, v11
	v_add_co_ci_u32_e32 v11, vcc_lo, 0, v12, vcc_lo
	v_add_co_u32 v9, vcc_lo, v10, v9
	v_add_co_ci_u32_e32 v9, vcc_lo, v11, v13, vcc_lo
	v_add_co_ci_u32_e32 v10, vcc_lo, 0, v14, vcc_lo
	v_add_co_u32 v8, vcc_lo, v9, v8
	v_add_co_ci_u32_e32 v9, vcc_lo, 0, v10, vcc_lo
	v_add_co_u32 v4, vcc_lo, v4, v8
	v_add_co_ci_u32_e32 v11, vcc_lo, v7, v9, vcc_lo
	v_mul_hi_u32 v13, v5, v4
	v_mad_u64_u32 v[9:10], null, v6, v4, 0
	v_mad_u64_u32 v[7:8], null, v5, v11, 0
	;; [unrolled: 1-line block ×3, first 2 shown]
	v_add_co_u32 v4, vcc_lo, v13, v7
	v_add_co_ci_u32_e32 v7, vcc_lo, 0, v8, vcc_lo
	v_add_co_u32 v4, vcc_lo, v4, v9
	v_add_co_ci_u32_e32 v4, vcc_lo, v7, v10, vcc_lo
	v_add_co_ci_u32_e32 v7, vcc_lo, 0, v12, vcc_lo
	v_add_co_u32 v4, vcc_lo, v4, v11
	v_add_co_ci_u32_e32 v9, vcc_lo, 0, v7, vcc_lo
	v_mul_lo_u32 v10, s25, v4
	v_mad_u64_u32 v[7:8], null, s24, v4, 0
	v_mul_lo_u32 v11, s24, v9
	v_sub_co_u32 v7, vcc_lo, v5, v7
	v_add3_u32 v8, v8, v11, v10
	v_sub_nc_u32_e32 v10, v6, v8
	v_subrev_co_ci_u32_e64 v10, s0, s25, v10, vcc_lo
	v_add_co_u32 v11, s0, v4, 2
	v_add_co_ci_u32_e64 v12, s0, 0, v9, s0
	v_sub_co_u32 v13, s0, v7, s24
	v_sub_co_ci_u32_e32 v8, vcc_lo, v6, v8, vcc_lo
	v_subrev_co_ci_u32_e64 v10, s0, 0, v10, s0
	v_cmp_le_u32_e32 vcc_lo, s24, v13
	v_cmp_eq_u32_e64 s0, s25, v8
	v_cndmask_b32_e64 v13, 0, -1, vcc_lo
	v_cmp_le_u32_e32 vcc_lo, s25, v10
	v_cndmask_b32_e64 v14, 0, -1, vcc_lo
	v_cmp_le_u32_e32 vcc_lo, s24, v7
	;; [unrolled: 2-line block ×3, first 2 shown]
	v_cndmask_b32_e64 v15, 0, -1, vcc_lo
	v_cmp_eq_u32_e32 vcc_lo, s25, v10
	v_cndmask_b32_e64 v7, v15, v7, s0
	v_cndmask_b32_e32 v10, v14, v13, vcc_lo
	v_add_co_u32 v13, vcc_lo, v4, 1
	v_add_co_ci_u32_e32 v14, vcc_lo, 0, v9, vcc_lo
	v_cmp_ne_u32_e32 vcc_lo, 0, v10
	v_cndmask_b32_e32 v8, v14, v12, vcc_lo
	v_cndmask_b32_e32 v10, v13, v11, vcc_lo
	v_cmp_ne_u32_e32 vcc_lo, 0, v7
	v_cndmask_b32_e32 v125, v9, v8, vcc_lo
	v_cndmask_b32_e32 v124, v4, v10, vcc_lo
.LBB0_4:                                ;   in Loop: Header=BB0_2 Depth=1
	s_andn2_saveexec_b32 s0, s1
	s_cbranch_execz .LBB0_6
; %bb.5:                                ;   in Loop: Header=BB0_2 Depth=1
	v_cvt_f32_u32_e32 v4, s24
	s_sub_i32 s1, 0, s24
	v_mov_b32_e32 v125, v3
	v_rcp_iflag_f32_e32 v4, v4
	v_mul_f32_e32 v4, 0x4f7ffffe, v4
	v_cvt_u32_f32_e32 v4, v4
	v_mul_lo_u32 v7, s1, v4
	v_mul_hi_u32 v7, v4, v7
	v_add_nc_u32_e32 v4, v4, v7
	v_mul_hi_u32 v4, v5, v4
	v_mul_lo_u32 v7, v4, s24
	v_add_nc_u32_e32 v8, 1, v4
	v_sub_nc_u32_e32 v7, v5, v7
	v_subrev_nc_u32_e32 v9, s24, v7
	v_cmp_le_u32_e32 vcc_lo, s24, v7
	v_cndmask_b32_e32 v7, v7, v9, vcc_lo
	v_cndmask_b32_e32 v4, v4, v8, vcc_lo
	v_cmp_le_u32_e32 vcc_lo, s24, v7
	v_add_nc_u32_e32 v8, 1, v4
	v_cndmask_b32_e32 v124, v4, v8, vcc_lo
.LBB0_6:                                ;   in Loop: Header=BB0_2 Depth=1
	s_or_b32 exec_lo, exec_lo, s0
	v_mul_lo_u32 v4, v125, s24
	v_mul_lo_u32 v9, v124, s25
	s_load_dwordx2 s[0:1], s[6:7], 0x0
	v_mad_u64_u32 v[7:8], null, v124, s24, 0
	s_load_dwordx2 s[24:25], s[2:3], 0x0
	s_add_u32 s22, s22, 1
	s_addc_u32 s23, s23, 0
	s_add_u32 s2, s2, 8
	s_addc_u32 s3, s3, 0
	s_add_u32 s6, s6, 8
	v_add3_u32 v4, v8, v9, v4
	v_sub_co_u32 v5, vcc_lo, v5, v7
	s_addc_u32 s7, s7, 0
	s_add_u32 s20, s20, 8
	v_sub_co_ci_u32_e32 v4, vcc_lo, v6, v4, vcc_lo
	s_addc_u32 s21, s21, 0
	s_waitcnt lgkmcnt(0)
	v_mul_lo_u32 v6, s0, v4
	v_mul_lo_u32 v7, s1, v5
	v_mad_u64_u32 v[1:2], null, s0, v5, v[1:2]
	v_mul_lo_u32 v4, s24, v4
	v_mul_lo_u32 v8, s25, v5
	v_mad_u64_u32 v[122:123], null, s24, v5, v[122:123]
	v_cmp_ge_u64_e64 s0, s[22:23], s[14:15]
	v_add3_u32 v2, v7, v2, v6
	v_add3_u32 v123, v8, v123, v4
	s_and_b32 vcc_lo, exec_lo, s0
	s_cbranch_vccnz .LBB0_9
; %bb.7:                                ;   in Loop: Header=BB0_2 Depth=1
	v_mov_b32_e32 v5, v124
	v_mov_b32_e32 v6, v125
	s_branch .LBB0_2
.LBB0_8:
	v_mov_b32_e32 v123, v2
	v_mov_b32_e32 v125, v6
	;; [unrolled: 1-line block ×4, first 2 shown]
.LBB0_9:
	s_load_dwordx2 s[0:1], s[4:5], 0x28
	v_mul_hi_u32 v3, 0x2aaaaab, v0
	s_lshl_b64 s[4:5], s[14:15], 3
                                        ; implicit-def: $vgpr120
                                        ; implicit-def: $vgpr4_vgpr5
	s_add_u32 s2, s18, s4
	s_addc_u32 s3, s19, s5
	s_waitcnt lgkmcnt(0)
	v_cmp_gt_u64_e32 vcc_lo, s[0:1], v[124:125]
	v_cmp_le_u64_e64 s0, s[0:1], v[124:125]
	s_and_saveexec_b32 s1, s0
	s_xor_b32 s0, exec_lo, s1
; %bb.10:
	v_mul_u32_u24_e32 v1, 0x60, v3
	v_mov_b32_e32 v121, 0
                                        ; implicit-def: $vgpr3
	v_sub_nc_u32_e32 v120, v0, v1
                                        ; implicit-def: $vgpr0
                                        ; implicit-def: $vgpr1_vgpr2
	v_mov_b32_e32 v4, v120
	v_mov_b32_e32 v5, v121
; %bb.11:
	s_or_saveexec_b32 s1, s0
	s_load_dwordx2 s[2:3], s[2:3], 0x0
	s_xor_b32 exec_lo, exec_lo, s1
	s_cbranch_execz .LBB0_15
; %bb.12:
	s_add_u32 s4, s16, s4
	s_addc_u32 s5, s17, s5
	v_mul_u32_u24_e32 v5, 0x60, v3
	s_load_dwordx2 s[4:5], s[4:5], 0x0
	v_mov_b32_e32 v121, 0
	v_sub_nc_u32_e32 v120, v0, v5
	v_lshlrev_b64 v[0:1], 4, v[1:2]
	v_lshlrev_b32_e32 v134, 4, v120
	v_or_b32_e32 v5, 0x1800, v134
	v_or_b32_e32 v8, 0x6000, v134
	v_or_b32_e32 v9, 0x7800, v134
	v_or_b32_e32 v10, 0x9000, v134
	v_or_b32_e32 v16, 0xa800, v134
	s_waitcnt lgkmcnt(0)
	v_mul_lo_u32 v6, s5, v124
	v_mul_lo_u32 v7, s4, v125
	v_mad_u64_u32 v[3:4], null, s4, v124, 0
	v_add3_u32 v4, v4, v7, v6
	v_or_b32_e32 v6, 0x3000, v134
	v_or_b32_e32 v7, 0x4800, v134
	v_lshlrev_b64 v[2:3], 4, v[3:4]
	v_add_co_u32 v2, s0, s8, v2
	v_add_co_ci_u32_e64 v3, s0, s9, v3, s0
	v_add_co_u32 v0, s0, v2, v0
	v_add_co_ci_u32_e64 v1, s0, v3, v1, s0
	;; [unrolled: 2-line block ×13, first 2 shown]
	s_clause 0x7
	global_load_dwordx4 v[6:9], v[2:3], off
	global_load_dwordx4 v[10:13], v[2:3], off offset:1536
	global_load_dwordx4 v[14:17], v[14:15], off
	global_load_dwordx4 v[18:21], v[18:19], off
	global_load_dwordx4 v[22:25], v[22:23], off offset:1024
	global_load_dwordx4 v[26:29], v[26:27], off offset:512
	global_load_dwordx4 v[30:33], v[4:5], off
	global_load_dwordx4 v[34:37], v[34:35], off offset:1536
	v_add_co_u32 v4, s0, 0x2000, v2
	v_add_co_ci_u32_e64 v5, s0, 0, v3, s0
	v_add_co_u32 v74, s0, 0x2800, v2
	v_add_co_ci_u32_e64 v75, s0, 0, v3, s0
	;; [unrolled: 2-line block ×16, first 2 shown]
	s_clause 0x9
	global_load_dwordx4 v[38:41], v[38:39], off
	global_load_dwordx4 v[42:45], v[42:43], off offset:1536
	global_load_dwordx4 v[46:49], v[46:47], off
	global_load_dwordx4 v[50:53], v[50:51], off offset:1536
	;; [unrolled: 2-line block ×4, first 2 shown]
	global_load_dwordx4 v[70:73], v[4:5], off offset:1024
	global_load_dwordx4 v[74:77], v[74:75], off offset:512
	v_add_co_u32 v4, s0, 0x9800, v2
	v_add_co_ci_u32_e64 v5, s0, 0, v3, s0
	v_add_co_u32 v2, s0, 0xa000, v2
	v_add_co_ci_u32_e64 v3, s0, 0, v3, s0
	s_clause 0xb
	global_load_dwordx4 v[78:81], v[78:79], off offset:1024
	global_load_dwordx4 v[82:85], v[82:83], off offset:512
	global_load_dwordx4 v[86:89], v[86:87], off offset:1024
	global_load_dwordx4 v[90:93], v[90:91], off offset:512
	global_load_dwordx4 v[94:97], v[94:95], off offset:1024
	global_load_dwordx4 v[98:101], v[98:99], off offset:512
	global_load_dwordx4 v[102:105], v[102:103], off offset:1024
	global_load_dwordx4 v[106:109], v[106:107], off offset:512
	global_load_dwordx4 v[110:113], v[110:111], off offset:1536
	global_load_dwordx4 v[114:117], v[4:5], off offset:1024
	global_load_dwordx4 v[126:129], v[2:3], off offset:512
	global_load_dwordx4 v[130:133], v[118:119], off offset:1536
	v_mov_b32_e32 v4, v120
	v_add_nc_u32_e32 v2, 0, v134
	v_cmp_eq_u32_e64 s0, 0x5f, v120
	v_mov_b32_e32 v5, v121
	s_waitcnt vmcnt(29)
	ds_write_b128 v2, v[6:9]
	s_waitcnt vmcnt(28)
	ds_write_b128 v2, v[10:13] offset:1536
	s_waitcnt vmcnt(23)
	ds_write_b128 v2, v[30:33] offset:6144
	;; [unrolled: 2-line block ×6, first 2 shown]
	ds_write_b128 v2, v[14:17] offset:36864
	ds_write_b128 v2, v[18:21] offset:43008
	;; [unrolled: 1-line block ×5, first 2 shown]
	s_waitcnt vmcnt(13)
	ds_write_b128 v2, v[70:73] offset:9216
	s_waitcnt vmcnt(12)
	ds_write_b128 v2, v[74:77] offset:10752
	ds_write_b128 v2, v[42:45] offset:13824
	s_waitcnt vmcnt(11)
	ds_write_b128 v2, v[78:81] offset:15360
	s_waitcnt vmcnt(10)
	ds_write_b128 v2, v[82:85] offset:16896
	ds_write_b128 v2, v[50:53] offset:19968
	;; [unrolled: 5-line block ×4, first 2 shown]
	s_waitcnt vmcnt(5)
	ds_write_b128 v2, v[102:105] offset:33792
	s_waitcnt vmcnt(4)
	ds_write_b128 v2, v[106:109] offset:35328
	;; [unrolled: 2-line block ×6, first 2 shown]
	s_and_saveexec_b32 s4, s0
	s_cbranch_execz .LBB0_14
; %bb.13:
	v_add_co_u32 v0, s0, 0xb000, v0
	v_add_co_ci_u32_e64 v1, s0, 0, v1, s0
	v_mov_b32_e32 v4, 0x5f
	v_mov_b32_e32 v5, 0
	;; [unrolled: 1-line block ×3, first 2 shown]
	global_load_dwordx4 v[0:3], v[0:1], off offset:1024
	s_waitcnt vmcnt(0)
	ds_write_b128 v121, v[0:3] offset:46080
.LBB0_14:
	s_or_b32 exec_lo, exec_lo, s4
.LBB0_15:
	s_or_b32 exec_lo, exec_lo, s1
	v_lshlrev_b32_e32 v0, 4, v120
	s_waitcnt lgkmcnt(0)
	s_barrier
	buffer_gl0_inv
	v_lshlrev_b64 v[132:133], 4, v[4:5]
	v_add_nc_u32_e32 v170, 0, v0
	v_sub_nc_u32_e32 v10, 0, v0
	s_add_u32 s1, s12, 0xb360
	s_addc_u32 s4, s13, 0
	s_mov_b32 s5, exec_lo
	ds_read_b64 v[6:7], v170
	ds_read_b64 v[8:9], v10 offset:46080
	s_waitcnt lgkmcnt(0)
	v_add_f64 v[0:1], v[6:7], v[8:9]
	v_add_f64 v[2:3], v[6:7], -v[8:9]
	v_cmpx_ne_u32_e32 0, v120
	s_xor_b32 s5, exec_lo, s5
	s_cbranch_execz .LBB0_17
; %bb.16:
	v_add_co_u32 v0, s0, s1, v132
	v_add_co_ci_u32_e64 v1, s0, s4, v133, s0
	v_add_f64 v[13:14], v[6:7], v[8:9]
	v_add_f64 v[8:9], v[6:7], -v[8:9]
	global_load_dwordx4 v[2:5], v[0:1], off
	ds_read_b64 v[0:1], v10 offset:46088
	ds_read_b64 v[11:12], v170 offset:8
	s_waitcnt lgkmcnt(0)
	v_add_f64 v[6:7], v[0:1], v[11:12]
	v_add_f64 v[0:1], v[11:12], -v[0:1]
	s_waitcnt vmcnt(0)
	v_fma_f64 v[11:12], v[8:9], v[4:5], v[13:14]
	v_fma_f64 v[13:14], -v[8:9], v[4:5], v[13:14]
	v_fma_f64 v[15:16], v[6:7], v[4:5], -v[0:1]
	v_fma_f64 v[17:18], v[6:7], v[4:5], v[0:1]
	v_fma_f64 v[0:1], -v[6:7], v[2:3], v[11:12]
	v_fma_f64 v[4:5], v[6:7], v[2:3], v[13:14]
	v_fma_f64 v[6:7], v[8:9], v[2:3], v[15:16]
	v_fma_f64 v[2:3], v[8:9], v[2:3], v[17:18]
	ds_write_b128 v10, v[4:7] offset:46080
.LBB0_17:
	s_andn2_saveexec_b32 s0, s5
	s_cbranch_execz .LBB0_19
; %bb.18:
	v_mov_b32_e32 v8, 0
	ds_read_b128 v[4:7], v8 offset:23040
	s_waitcnt lgkmcnt(0)
	v_add_f64 v[4:5], v[4:5], v[4:5]
	v_mul_f64 v[6:7], v[6:7], -2.0
	ds_write_b128 v8, v[4:7] offset:23040
.LBB0_19:
	s_or_b32 exec_lo, exec_lo, s0
	ds_write_b128 v170, v[0:3]
	ds_read_b128 v[0:3], v170 offset:1536
	ds_read_b128 v[4:7], v10 offset:44544
	v_mov_b32_e32 v121, 0
	v_or_b32_e32 v139, 0x180, v120
	v_or_b32_e32 v136, 0x300, v120
	s_mov_b32 s8, 0x134454ff
	s_mov_b32 s9, 0xbfee6f0e
	v_lshlrev_b64 v[134:135], 4, v[120:121]
	v_mov_b32_e32 v140, v121
	v_mov_b32_e32 v137, v121
	;; [unrolled: 1-line block ×3, first 2 shown]
	s_mov_b32 s14, 0x4755a5e
	s_mov_b32 s15, 0xbfe2cf23
	v_lshlrev_b64 v[130:131], 4, v[139:140]
	v_lshlrev_b64 v[126:127], 4, v[136:137]
	v_or_b32_e32 v137, 0x480, v120
	s_mov_b32 s5, 0x3fe2cf23
	s_mov_b32 s6, 0x372fe950
	s_mov_b32 s7, 0x3fd3c6ef
	s_mov_b32 s16, 0x9b97f4a8
	v_lshlrev_b64 v[128:129], 4, v[137:138]
	s_waitcnt lgkmcnt(0)
	v_add_f64 v[11:12], v[0:1], v[4:5]
	v_add_f64 v[15:16], v[0:1], -v[4:5]
	v_add_co_u32 v0, s0, s1, v134
	v_add_co_ci_u32_e64 v1, s0, s4, v135, s0
	v_add_f64 v[13:14], v[6:7], v[2:3]
	v_add_f64 v[17:18], v[2:3], -v[6:7]
	s_mov_b32 s17, 0x3fe9e377
	global_load_dwordx4 v[2:5], v[0:1], off offset:1536
	s_mov_b32 s19, 0xbfd3c6ef
	s_mov_b32 s18, s6
	;; [unrolled: 1-line block ×4, first 2 shown]
	v_mov_b32_e32 v179, 5
	v_add_nc_u16 v180, v120, 0x60
	v_add_nc_u32_e32 v177, 0xc0, v120
	v_add_nc_u32_e32 v172, 0x120, v120
	;; [unrolled: 1-line block ×4, first 2 shown]
	v_and_b32_e32 v181, 0xff, v180
	v_add_nc_u32_e32 v174, 0x3c0, v120
	v_add_nc_u32_e32 v175, 0x420, v120
	;; [unrolled: 1-line block ×4, first 2 shown]
	s_waitcnt vmcnt(0)
	v_fma_f64 v[6:7], v[15:16], v[4:5], v[11:12]
	v_fma_f64 v[8:9], v[13:14], v[4:5], v[17:18]
	v_fma_f64 v[6:7], -v[13:14], v[2:3], v[6:7]
	v_fma_f64 v[8:9], v[15:16], v[2:3], v[8:9]
	ds_write_b128 v170, v[6:9] offset:1536
	v_fma_f64 v[6:7], -v[15:16], v[4:5], v[11:12]
	v_fma_f64 v[4:5], v[13:14], v[4:5], -v[17:18]
	v_fma_f64 v[6:7], v[13:14], v[2:3], v[6:7]
	v_fma_f64 v[8:9], v[15:16], v[2:3], v[4:5]
	ds_write_b128 v10, v[6:9] offset:44544
	ds_read_b128 v[2:5], v170 offset:3072
	ds_read_b128 v[6:9], v10 offset:43008
	s_waitcnt lgkmcnt(0)
	v_add_f64 v[11:12], v[2:3], v[6:7]
	v_add_f64 v[15:16], v[2:3], -v[6:7]
	v_add_co_u32 v2, s0, 0x800, v0
	v_add_co_ci_u32_e64 v3, s0, 0, v1, s0
	v_add_f64 v[13:14], v[8:9], v[4:5]
	v_add_f64 v[17:18], v[4:5], -v[8:9]
	global_load_dwordx4 v[2:5], v[2:3], off offset:1024
	s_waitcnt vmcnt(0)
	v_fma_f64 v[6:7], v[15:16], v[4:5], v[11:12]
	v_fma_f64 v[8:9], v[13:14], v[4:5], v[17:18]
	v_fma_f64 v[6:7], -v[13:14], v[2:3], v[6:7]
	v_fma_f64 v[8:9], v[15:16], v[2:3], v[8:9]
	ds_write_b128 v170, v[6:9] offset:3072
	v_fma_f64 v[6:7], -v[15:16], v[4:5], v[11:12]
	v_fma_f64 v[4:5], v[13:14], v[4:5], -v[17:18]
	v_fma_f64 v[6:7], v[13:14], v[2:3], v[6:7]
	v_fma_f64 v[8:9], v[15:16], v[2:3], v[4:5]
	ds_write_b128 v10, v[6:9] offset:43008
	ds_read_b128 v[2:5], v170 offset:4608
	ds_read_b128 v[6:9], v10 offset:41472
	s_waitcnt lgkmcnt(0)
	v_add_f64 v[11:12], v[2:3], v[6:7]
	v_add_f64 v[15:16], v[2:3], -v[6:7]
	v_add_co_u32 v2, s0, 0x1000, v0
	v_add_co_ci_u32_e64 v3, s0, 0, v1, s0
	v_add_f64 v[13:14], v[8:9], v[4:5]
	v_add_f64 v[17:18], v[4:5], -v[8:9]
	global_load_dwordx4 v[2:5], v[2:3], off offset:512
	s_waitcnt vmcnt(0)
	v_fma_f64 v[6:7], v[15:16], v[4:5], v[11:12]
	v_fma_f64 v[8:9], v[13:14], v[4:5], v[17:18]
	v_fma_f64 v[6:7], -v[13:14], v[2:3], v[6:7]
	v_fma_f64 v[8:9], v[15:16], v[2:3], v[8:9]
	ds_write_b128 v170, v[6:9] offset:4608
	v_fma_f64 v[6:7], -v[15:16], v[4:5], v[11:12]
	v_fma_f64 v[4:5], v[13:14], v[4:5], -v[17:18]
	v_fma_f64 v[6:7], v[13:14], v[2:3], v[6:7]
	v_fma_f64 v[8:9], v[15:16], v[2:3], v[4:5]
	ds_write_b128 v10, v[6:9] offset:41472
	ds_read_b128 v[2:5], v170 offset:6144
	ds_read_b128 v[6:9], v10 offset:39936
	s_waitcnt lgkmcnt(0)
	v_add_f64 v[11:12], v[2:3], v[6:7]
	v_add_f64 v[15:16], v[2:3], -v[6:7]
	v_add_co_u32 v2, s0, s1, v130
	v_add_co_ci_u32_e64 v3, s0, s4, v131, s0
	v_add_f64 v[13:14], v[8:9], v[4:5]
	v_add_f64 v[17:18], v[4:5], -v[8:9]
	global_load_dwordx4 v[2:5], v[2:3], off
	s_waitcnt vmcnt(0)
	v_fma_f64 v[6:7], v[15:16], v[4:5], v[11:12]
	v_fma_f64 v[8:9], v[13:14], v[4:5], v[17:18]
	v_fma_f64 v[6:7], -v[13:14], v[2:3], v[6:7]
	v_fma_f64 v[8:9], v[15:16], v[2:3], v[8:9]
	ds_write_b128 v170, v[6:9] offset:6144
	v_fma_f64 v[6:7], -v[15:16], v[4:5], v[11:12]
	v_fma_f64 v[4:5], v[13:14], v[4:5], -v[17:18]
	v_fma_f64 v[6:7], v[13:14], v[2:3], v[6:7]
	v_fma_f64 v[8:9], v[15:16], v[2:3], v[4:5]
	ds_write_b128 v10, v[6:9] offset:39936
	ds_read_b128 v[2:5], v170 offset:7680
	ds_read_b128 v[6:9], v10 offset:38400
	s_waitcnt lgkmcnt(0)
	v_add_f64 v[11:12], v[2:3], v[6:7]
	v_add_f64 v[15:16], v[2:3], -v[6:7]
	v_add_co_u32 v2, s0, 0x1800, v0
	v_add_co_ci_u32_e64 v3, s0, 0, v1, s0
	v_add_f64 v[13:14], v[8:9], v[4:5]
	v_add_f64 v[17:18], v[4:5], -v[8:9]
	global_load_dwordx4 v[2:5], v[2:3], off offset:1536
	s_waitcnt vmcnt(0)
	v_fma_f64 v[6:7], v[15:16], v[4:5], v[11:12]
	v_fma_f64 v[8:9], v[13:14], v[4:5], v[17:18]
	v_fma_f64 v[6:7], -v[13:14], v[2:3], v[6:7]
	v_fma_f64 v[8:9], v[15:16], v[2:3], v[8:9]
	ds_write_b128 v170, v[6:9] offset:7680
	v_fma_f64 v[6:7], -v[15:16], v[4:5], v[11:12]
	v_fma_f64 v[4:5], v[13:14], v[4:5], -v[17:18]
	v_fma_f64 v[6:7], v[13:14], v[2:3], v[6:7]
	v_fma_f64 v[8:9], v[15:16], v[2:3], v[4:5]
	ds_write_b128 v10, v[6:9] offset:38400
	ds_read_b128 v[2:5], v170 offset:9216
	ds_read_b128 v[6:9], v10 offset:36864
	s_waitcnt lgkmcnt(0)
	v_add_f64 v[11:12], v[2:3], v[6:7]
	v_add_f64 v[15:16], v[2:3], -v[6:7]
	v_add_co_u32 v2, s0, 0x2000, v0
	v_add_co_ci_u32_e64 v3, s0, 0, v1, s0
	v_add_f64 v[13:14], v[8:9], v[4:5]
	v_add_f64 v[17:18], v[4:5], -v[8:9]
	global_load_dwordx4 v[2:5], v[2:3], off offset:1024
	;; [unrolled: 21-line block ×3, first 2 shown]
	s_waitcnt vmcnt(0)
	v_fma_f64 v[6:7], v[15:16], v[4:5], v[11:12]
	v_fma_f64 v[8:9], v[13:14], v[4:5], v[17:18]
	v_fma_f64 v[6:7], -v[13:14], v[2:3], v[6:7]
	v_fma_f64 v[8:9], v[15:16], v[2:3], v[8:9]
	ds_write_b128 v170, v[6:9] offset:10752
	v_fma_f64 v[6:7], -v[15:16], v[4:5], v[11:12]
	v_fma_f64 v[4:5], v[13:14], v[4:5], -v[17:18]
	v_fma_f64 v[6:7], v[13:14], v[2:3], v[6:7]
	v_fma_f64 v[8:9], v[15:16], v[2:3], v[4:5]
	ds_write_b128 v10, v[6:9] offset:35328
	ds_read_b128 v[2:5], v170 offset:12288
	ds_read_b128 v[6:9], v10 offset:33792
	s_waitcnt lgkmcnt(0)
	v_add_f64 v[11:12], v[2:3], v[6:7]
	v_add_f64 v[15:16], v[2:3], -v[6:7]
	v_add_co_u32 v2, s0, s1, v126
	v_add_co_ci_u32_e64 v3, s0, s4, v127, s0
	v_add_f64 v[13:14], v[8:9], v[4:5]
	v_add_f64 v[17:18], v[4:5], -v[8:9]
	global_load_dwordx4 v[2:5], v[2:3], off
	s_waitcnt vmcnt(0)
	v_fma_f64 v[6:7], v[15:16], v[4:5], v[11:12]
	v_fma_f64 v[8:9], v[13:14], v[4:5], v[17:18]
	v_fma_f64 v[6:7], -v[13:14], v[2:3], v[6:7]
	v_fma_f64 v[8:9], v[15:16], v[2:3], v[8:9]
	ds_write_b128 v170, v[6:9] offset:12288
	v_fma_f64 v[6:7], -v[15:16], v[4:5], v[11:12]
	v_fma_f64 v[4:5], v[13:14], v[4:5], -v[17:18]
	v_fma_f64 v[6:7], v[13:14], v[2:3], v[6:7]
	v_fma_f64 v[8:9], v[15:16], v[2:3], v[4:5]
	ds_write_b128 v10, v[6:9] offset:33792
	ds_read_b128 v[2:5], v170 offset:13824
	ds_read_b128 v[6:9], v10 offset:32256
	s_waitcnt lgkmcnt(0)
	v_add_f64 v[11:12], v[2:3], v[6:7]
	v_add_f64 v[15:16], v[2:3], -v[6:7]
	v_add_co_u32 v2, s0, 0x3000, v0
	v_add_co_ci_u32_e64 v3, s0, 0, v1, s0
	v_add_f64 v[13:14], v[8:9], v[4:5]
	v_add_f64 v[17:18], v[4:5], -v[8:9]
	global_load_dwordx4 v[2:5], v[2:3], off offset:1536
	s_waitcnt vmcnt(0)
	v_fma_f64 v[6:7], v[15:16], v[4:5], v[11:12]
	v_fma_f64 v[8:9], v[13:14], v[4:5], v[17:18]
	v_fma_f64 v[6:7], -v[13:14], v[2:3], v[6:7]
	v_fma_f64 v[8:9], v[15:16], v[2:3], v[8:9]
	ds_write_b128 v170, v[6:9] offset:13824
	v_fma_f64 v[6:7], -v[15:16], v[4:5], v[11:12]
	v_fma_f64 v[4:5], v[13:14], v[4:5], -v[17:18]
	v_fma_f64 v[6:7], v[13:14], v[2:3], v[6:7]
	v_fma_f64 v[8:9], v[15:16], v[2:3], v[4:5]
	ds_write_b128 v10, v[6:9] offset:32256
	ds_read_b128 v[2:5], v170 offset:15360
	ds_read_b128 v[6:9], v10 offset:30720
	s_waitcnt lgkmcnt(0)
	v_add_f64 v[11:12], v[2:3], v[6:7]
	v_add_f64 v[15:16], v[2:3], -v[6:7]
	v_add_co_u32 v2, s0, 0x3800, v0
	v_add_co_ci_u32_e64 v3, s0, 0, v1, s0
	v_add_f64 v[13:14], v[8:9], v[4:5]
	v_add_f64 v[17:18], v[4:5], -v[8:9]
	global_load_dwordx4 v[2:5], v[2:3], off offset:1024
	;; [unrolled: 21-line block ×3, first 2 shown]
	s_waitcnt vmcnt(0)
	v_fma_f64 v[6:7], v[15:16], v[4:5], v[11:12]
	v_fma_f64 v[8:9], v[13:14], v[4:5], v[17:18]
	v_fma_f64 v[6:7], -v[13:14], v[2:3], v[6:7]
	v_fma_f64 v[8:9], v[15:16], v[2:3], v[8:9]
	ds_write_b128 v170, v[6:9] offset:16896
	v_fma_f64 v[6:7], -v[15:16], v[4:5], v[11:12]
	v_fma_f64 v[4:5], v[13:14], v[4:5], -v[17:18]
	v_fma_f64 v[6:7], v[13:14], v[2:3], v[6:7]
	v_fma_f64 v[8:9], v[15:16], v[2:3], v[4:5]
	ds_write_b128 v10, v[6:9] offset:29184
	ds_read_b128 v[2:5], v170 offset:18432
	ds_read_b128 v[6:9], v10 offset:27648
	s_waitcnt lgkmcnt(0)
	v_add_f64 v[11:12], v[2:3], v[6:7]
	v_add_f64 v[15:16], v[2:3], -v[6:7]
	v_add_co_u32 v2, s0, s1, v128
	v_add_co_ci_u32_e64 v3, s0, s4, v129, s0
	v_add_f64 v[13:14], v[8:9], v[4:5]
	v_add_f64 v[17:18], v[4:5], -v[8:9]
	s_mov_b32 s1, 0x3fee6f0e
	global_load_dwordx4 v[2:5], v[2:3], off
	s_mov_b32 s4, s14
	s_waitcnt vmcnt(0)
	v_fma_f64 v[6:7], v[15:16], v[4:5], v[11:12]
	v_fma_f64 v[8:9], v[13:14], v[4:5], v[17:18]
	v_fma_f64 v[6:7], -v[13:14], v[2:3], v[6:7]
	v_fma_f64 v[8:9], v[15:16], v[2:3], v[8:9]
	ds_write_b128 v170, v[6:9] offset:18432
	v_fma_f64 v[6:7], -v[15:16], v[4:5], v[11:12]
	v_fma_f64 v[4:5], v[13:14], v[4:5], -v[17:18]
	v_fma_f64 v[6:7], v[13:14], v[2:3], v[6:7]
	v_fma_f64 v[8:9], v[15:16], v[2:3], v[4:5]
	ds_write_b128 v10, v[6:9] offset:27648
	ds_read_b128 v[2:5], v170 offset:19968
	ds_read_b128 v[6:9], v10 offset:26112
	s_waitcnt lgkmcnt(0)
	v_add_f64 v[11:12], v[2:3], v[6:7]
	v_add_f64 v[15:16], v[2:3], -v[6:7]
	v_add_co_u32 v2, s0, 0x4800, v0
	v_add_co_ci_u32_e64 v3, s0, 0, v1, s0
	v_add_f64 v[13:14], v[8:9], v[4:5]
	v_add_f64 v[17:18], v[4:5], -v[8:9]
	v_add_co_u32 v0, s0, 0x5000, v0
	global_load_dwordx4 v[2:5], v[2:3], off offset:1536
	v_add_co_ci_u32_e64 v1, s0, 0, v1, s0
	s_mov_b32 s0, s8
	s_waitcnt vmcnt(0)
	v_fma_f64 v[6:7], v[15:16], v[4:5], v[11:12]
	v_fma_f64 v[8:9], v[13:14], v[4:5], v[17:18]
	v_fma_f64 v[6:7], -v[13:14], v[2:3], v[6:7]
	v_fma_f64 v[8:9], v[15:16], v[2:3], v[8:9]
	ds_write_b128 v170, v[6:9] offset:19968
	v_fma_f64 v[6:7], -v[15:16], v[4:5], v[11:12]
	v_fma_f64 v[4:5], v[13:14], v[4:5], -v[17:18]
	v_fma_f64 v[6:7], v[13:14], v[2:3], v[6:7]
	v_fma_f64 v[8:9], v[15:16], v[2:3], v[4:5]
	ds_write_b128 v10, v[6:9] offset:26112
	ds_read_b128 v[2:5], v170 offset:21504
	ds_read_b128 v[6:9], v10 offset:24576
	s_waitcnt lgkmcnt(0)
	v_add_f64 v[11:12], v[2:3], v[6:7]
	v_add_f64 v[15:16], v[2:3], -v[6:7]
	global_load_dwordx4 v[0:3], v[0:1], off offset:1024
	v_add_f64 v[13:14], v[8:9], v[4:5]
	v_add_f64 v[8:9], v[4:5], -v[8:9]
	s_waitcnt vmcnt(0)
	v_fma_f64 v[4:5], v[15:16], v[2:3], v[11:12]
	v_fma_f64 v[6:7], v[13:14], v[2:3], v[8:9]
	v_fma_f64 v[4:5], -v[13:14], v[0:1], v[4:5]
	v_fma_f64 v[6:7], v[15:16], v[0:1], v[6:7]
	ds_write_b128 v170, v[4:7] offset:21504
	v_fma_f64 v[4:5], -v[15:16], v[2:3], v[11:12]
	v_fma_f64 v[2:3], v[13:14], v[2:3], -v[8:9]
	v_fma_f64 v[4:5], v[13:14], v[0:1], v[4:5]
	v_fma_f64 v[6:7], v[15:16], v[0:1], v[2:3]
	ds_write_b128 v10, v[4:7] offset:24576
	s_waitcnt lgkmcnt(0)
	s_barrier
	buffer_gl0_inv
	s_barrier
	buffer_gl0_inv
	ds_read_b128 v[68:71], v170
	ds_read_b128 v[48:51], v170 offset:4608
	ds_read_b128 v[60:63], v170 offset:9216
	;; [unrolled: 1-line block ×29, first 2 shown]
	s_waitcnt lgkmcnt(23)
	v_add_f64 v[142:143], v[64:65], v[72:73]
	s_waitcnt lgkmcnt(21)
	v_add_f64 v[146:147], v[62:63], -v[78:79]
	v_add_f64 v[148:149], v[66:67], -v[74:75]
	;; [unrolled: 1-line block ×4, first 2 shown]
	v_add_f64 v[140:141], v[68:69], v[60:61]
	v_add_f64 v[154:155], v[72:73], -v[76:77]
	s_waitcnt lgkmcnt(0)
	s_barrier
	buffer_gl0_inv
	v_fma_f64 v[144:145], v[142:143], -0.5, v[68:69]
	v_add_f64 v[150:151], v[150:151], v[152:153]
	v_add_f64 v[152:153], v[64:65], -v[60:61]
	v_add_f64 v[140:141], v[140:141], v[64:65]
	v_add_f64 v[64:65], v[64:65], -v[72:73]
	v_fma_f64 v[142:143], v[146:147], s[8:9], v[144:145]
	v_fma_f64 v[144:145], v[146:147], s[0:1], v[144:145]
	v_add_f64 v[152:153], v[152:153], v[154:155]
	v_add_f64 v[140:141], v[140:141], v[72:73]
	v_fma_f64 v[142:143], v[148:149], s[14:15], v[142:143]
	v_fma_f64 v[144:145], v[148:149], s[4:5], v[144:145]
	v_add_f64 v[140:141], v[140:141], v[76:77]
	v_fma_f64 v[142:143], v[150:151], s[6:7], v[142:143]
	v_fma_f64 v[144:145], v[150:151], s[6:7], v[144:145]
	v_add_f64 v[150:151], v[60:61], v[76:77]
	v_add_f64 v[60:61], v[60:61], -v[76:77]
	v_fma_f64 v[68:69], v[150:151], -0.5, v[68:69]
	v_fma_f64 v[150:151], v[148:149], s[0:1], v[68:69]
	v_fma_f64 v[68:69], v[148:149], s[8:9], v[68:69]
	;; [unrolled: 1-line block ×6, first 2 shown]
	v_add_f64 v[68:69], v[70:71], v[62:63]
	v_add_f64 v[152:153], v[78:79], -v[74:75]
	v_add_f64 v[68:69], v[68:69], v[66:67]
	v_add_f64 v[68:69], v[68:69], v[74:75]
	;; [unrolled: 1-line block ×4, first 2 shown]
	v_fma_f64 v[68:69], v[68:69], -0.5, v[70:71]
	v_fma_f64 v[76:77], v[60:61], s[0:1], v[68:69]
	v_fma_f64 v[68:69], v[60:61], s[8:9], v[68:69]
	v_fma_f64 v[72:73], v[64:65], s[4:5], v[76:77]
	v_add_f64 v[76:77], v[62:63], -v[66:67]
	v_fma_f64 v[68:69], v[64:65], s[14:15], v[68:69]
	v_add_f64 v[76:77], v[76:77], v[152:153]
	v_fma_f64 v[154:155], v[76:77], s[6:7], v[68:69]
	v_add_f64 v[68:69], v[62:63], v[78:79]
	v_add_f64 v[62:63], v[66:67], -v[62:63]
	v_add_f64 v[66:67], v[74:75], -v[78:79]
	v_fma_f64 v[152:153], v[76:77], s[6:7], v[72:73]
	v_fma_f64 v[68:69], v[68:69], -0.5, v[70:71]
	v_add_f64 v[62:63], v[62:63], v[66:67]
	v_add_f64 v[66:67], v[46:47], -v[54:55]
	v_fma_f64 v[70:71], v[64:65], s[8:9], v[68:69]
	v_fma_f64 v[64:65], v[64:65], s[0:1], v[68:69]
	v_add_f64 v[68:69], v[40:41], -v[44:45]
	v_fma_f64 v[70:71], v[60:61], s[4:5], v[70:71]
	v_fma_f64 v[60:61], v[60:61], s[14:15], v[64:65]
	v_fma_f64 v[156:157], v[62:63], s[6:7], v[70:71]
	v_fma_f64 v[158:159], v[62:63], s[6:7], v[60:61]
	v_add_f64 v[60:61], v[48:49], v[40:41]
	v_add_f64 v[62:63], v[42:43], -v[58:59]
	v_add_f64 v[70:71], v[56:57], -v[52:53]
	v_add_f64 v[60:61], v[60:61], v[44:45]
	v_add_f64 v[68:69], v[68:69], v[70:71]
	;; [unrolled: 1-line block ×5, first 2 shown]
	v_fma_f64 v[60:61], v[60:61], -0.5, v[48:49]
	v_fma_f64 v[64:65], v[62:63], s[8:9], v[60:61]
	v_fma_f64 v[60:61], v[62:63], s[0:1], v[60:61]
	;; [unrolled: 1-line block ×6, first 2 shown]
	v_add_f64 v[60:61], v[40:41], v[56:57]
	v_add_f64 v[64:65], v[44:45], -v[40:41]
	v_add_f64 v[68:69], v[52:53], -v[56:57]
	;; [unrolled: 1-line block ×4, first 2 shown]
	v_fma_f64 v[48:49], v[60:61], -0.5, v[48:49]
	v_add_f64 v[64:65], v[64:65], v[68:69]
	v_fma_f64 v[60:61], v[66:67], s[0:1], v[48:49]
	v_fma_f64 v[48:49], v[66:67], s[8:9], v[48:49]
	;; [unrolled: 1-line block ×4, first 2 shown]
	v_add_f64 v[62:63], v[58:59], -v[54:55]
	v_fma_f64 v[74:75], v[64:65], s[6:7], v[60:61]
	v_add_f64 v[60:61], v[50:51], v[42:43]
	v_fma_f64 v[48:49], v[64:65], s[6:7], v[48:49]
	v_add_f64 v[60:61], v[60:61], v[46:47]
	v_add_f64 v[60:61], v[60:61], v[54:55]
	;; [unrolled: 1-line block ×4, first 2 shown]
	v_fma_f64 v[60:61], v[60:61], -0.5, v[50:51]
	v_fma_f64 v[56:57], v[40:41], s[0:1], v[60:61]
	v_fma_f64 v[60:61], v[40:41], s[8:9], v[60:61]
	;; [unrolled: 1-line block ×3, first 2 shown]
	v_add_f64 v[56:57], v[42:43], -v[46:47]
	v_fma_f64 v[60:61], v[44:45], s[14:15], v[60:61]
	v_add_f64 v[56:57], v[56:57], v[62:63]
	v_add_f64 v[62:63], v[148:149], v[162:163]
	v_fma_f64 v[52:53], v[56:57], s[6:7], v[52:53]
	v_fma_f64 v[56:57], v[56:57], s[6:7], v[60:61]
	v_add_f64 v[60:61], v[42:43], v[58:59]
	v_add_f64 v[42:43], v[46:47], -v[42:43]
	v_add_f64 v[46:47], v[54:55], -v[58:59]
	v_mul_f64 v[58:59], v[70:71], s[4:5]
	v_mul_f64 v[54:55], v[56:57], s[14:15]
	v_fma_f64 v[50:51], v[60:61], -0.5, v[50:51]
	v_add_f64 v[42:43], v[42:43], v[46:47]
	v_fma_f64 v[164:165], v[52:53], s[16:17], v[58:59]
	v_add_f64 v[58:59], v[148:149], -v[162:163]
	v_add_f64 v[148:149], v[114:115], -v[102:103]
	v_fma_f64 v[54:55], v[78:79], s[20:21], v[54:55]
	v_fma_f64 v[60:61], v[44:45], s[8:9], v[50:51]
	;; [unrolled: 1-line block ×3, first 2 shown]
	v_add_f64 v[66:67], v[152:153], v[164:165]
	v_add_f64 v[76:77], v[144:145], v[54:55]
	v_fma_f64 v[60:61], v[40:41], s[4:5], v[60:61]
	v_fma_f64 v[40:41], v[40:41], s[14:15], v[44:45]
	;; [unrolled: 1-line block ×4, first 2 shown]
	v_mul_f64 v[42:43], v[52:53], s[14:15]
	v_add_f64 v[60:61], v[140:141], v[160:161]
	v_mul_f64 v[44:45], v[46:47], s[8:9]
	v_mul_f64 v[50:51], v[40:41], s[8:9]
	v_fma_f64 v[42:43], v[70:71], s[16:17], v[42:43]
	v_mul_f64 v[40:41], v[40:41], s[18:19]
	v_mul_f64 v[46:47], v[46:47], s[6:7]
	v_fma_f64 v[44:45], v[74:75], s[6:7], v[44:45]
	v_fma_f64 v[50:51], v[48:49], s[18:19], v[50:51]
	v_add_f64 v[64:65], v[142:143], v[42:43]
	v_fma_f64 v[166:167], v[48:49], s[0:1], v[40:41]
	v_mul_f64 v[40:41], v[56:57], s[20:21]
	v_add_f64 v[52:53], v[142:143], -v[42:43]
	v_add_f64 v[142:143], v[112:113], v[100:101]
	v_add_f64 v[56:57], v[140:141], -v[160:161]
	v_add_f64 v[140:141], v[116:117], v[108:109]
	v_fma_f64 v[46:47], v[74:75], s[0:1], v[46:47]
	v_add_f64 v[68:69], v[150:151], v[44:45]
	v_add_f64 v[72:73], v[146:147], v[50:51]
	v_add_f64 v[48:49], v[150:151], -v[44:45]
	v_add_f64 v[44:45], v[146:147], -v[50:51]
	v_fma_f64 v[168:169], v[78:79], s[4:5], v[40:41]
	v_add_f64 v[40:41], v[144:145], -v[54:55]
	v_fma_f64 v[142:143], v[142:143], -0.5, v[116:117]
	v_add_f64 v[144:145], v[110:111], -v[106:107]
	v_add_f64 v[54:55], v[152:153], -v[164:165]
	;; [unrolled: 1-line block ×4, first 2 shown]
	v_add_f64 v[140:141], v[140:141], v[112:113]
	v_add_f64 v[70:71], v[156:157], v[46:47]
	;; [unrolled: 1-line block ×3, first 2 shown]
	v_add_f64 v[50:51], v[156:157], -v[46:47]
	v_add_f64 v[46:47], v[158:159], -v[166:167]
	v_add_f64 v[78:79], v[154:155], v[168:169]
	v_add_f64 v[42:43], v[154:155], -v[168:169]
	v_add_f64 v[154:155], v[100:101], -v[104:105]
	v_fma_f64 v[146:147], v[144:145], s[8:9], v[142:143]
	v_fma_f64 v[142:143], v[144:145], s[0:1], v[142:143]
	v_add_f64 v[150:151], v[150:151], v[152:153]
	v_add_f64 v[152:153], v[112:113], -v[108:109]
	v_add_f64 v[140:141], v[140:141], v[100:101]
	v_add_f64 v[100:101], v[112:113], -v[100:101]
	v_add_f64 v[112:113], v[110:111], -v[114:115]
	v_fma_f64 v[146:147], v[148:149], s[14:15], v[146:147]
	v_fma_f64 v[142:143], v[148:149], s[4:5], v[142:143]
	v_add_f64 v[152:153], v[152:153], v[154:155]
	v_add_f64 v[140:141], v[140:141], v[104:105]
	v_fma_f64 v[146:147], v[150:151], s[6:7], v[146:147]
	v_fma_f64 v[142:143], v[150:151], s[6:7], v[142:143]
	v_add_f64 v[150:151], v[108:109], v[104:105]
	v_add_f64 v[104:105], v[108:109], -v[104:105]
	v_fma_f64 v[116:117], v[150:151], -0.5, v[116:117]
	v_fma_f64 v[150:151], v[148:149], s[0:1], v[116:117]
	v_fma_f64 v[116:117], v[148:149], s[8:9], v[116:117]
	;; [unrolled: 1-line block ×6, first 2 shown]
	v_add_f64 v[116:117], v[118:119], v[110:111]
	v_add_f64 v[152:153], v[106:107], -v[102:103]
	v_add_f64 v[116:117], v[116:117], v[114:115]
	v_add_f64 v[112:113], v[112:113], v[152:153]
	;; [unrolled: 1-line block ×5, first 2 shown]
	v_add_f64 v[102:103], v[102:103], -v[106:107]
	v_fma_f64 v[116:117], v[116:117], -0.5, v[118:119]
	v_fma_f64 v[108:109], v[104:105], s[0:1], v[116:117]
	v_fma_f64 v[108:109], v[100:101], s[4:5], v[108:109]
	;; [unrolled: 1-line block ×6, first 2 shown]
	v_add_f64 v[108:109], v[110:111], v[106:107]
	v_add_f64 v[110:111], v[114:115], -v[110:111]
	v_add_f64 v[106:107], v[94:95], -v[82:83]
	v_fma_f64 v[108:109], v[108:109], -0.5, v[118:119]
	v_add_f64 v[102:103], v[110:111], v[102:103]
	v_add_f64 v[110:111], v[84:85], -v[80:81]
	v_fma_f64 v[112:113], v[100:101], s[8:9], v[108:109]
	v_fma_f64 v[100:101], v[100:101], s[0:1], v[108:109]
	v_add_f64 v[108:109], v[88:89], -v[92:93]
	v_fma_f64 v[112:113], v[104:105], s[4:5], v[112:113]
	v_fma_f64 v[100:101], v[104:105], s[14:15], v[100:101]
	v_add_f64 v[108:109], v[108:109], v[110:111]
	v_fma_f64 v[156:157], v[102:103], s[6:7], v[112:113]
	v_fma_f64 v[158:159], v[102:103], s[6:7], v[100:101]
	v_add_f64 v[100:101], v[96:97], v[88:89]
	v_add_f64 v[102:103], v[90:91], -v[86:87]
	v_add_f64 v[100:101], v[100:101], v[92:93]
	v_add_f64 v[100:101], v[100:101], v[80:81]
	;; [unrolled: 1-line block ×4, first 2 shown]
	v_fma_f64 v[100:101], v[100:101], -0.5, v[96:97]
	v_fma_f64 v[104:105], v[102:103], s[8:9], v[100:101]
	v_fma_f64 v[100:101], v[102:103], s[0:1], v[100:101]
	;; [unrolled: 1-line block ×6, first 2 shown]
	v_add_f64 v[100:101], v[88:89], v[84:85]
	v_add_f64 v[104:105], v[92:93], -v[88:89]
	v_add_f64 v[108:109], v[80:81], -v[84:85]
	;; [unrolled: 1-line block ×5, first 2 shown]
	v_fma_f64 v[96:97], v[100:101], -0.5, v[96:97]
	v_add_f64 v[104:105], v[104:105], v[108:109]
	v_fma_f64 v[100:101], v[106:107], s[0:1], v[96:97]
	v_fma_f64 v[96:97], v[106:107], s[8:9], v[96:97]
	;; [unrolled: 1-line block ×4, first 2 shown]
	v_add_f64 v[102:103], v[86:87], -v[82:83]
	v_fma_f64 v[114:115], v[104:105], s[6:7], v[100:101]
	v_add_f64 v[100:101], v[98:99], v[90:91]
	v_add_f64 v[92:93], v[92:93], v[102:103]
	v_fma_f64 v[96:97], v[104:105], s[6:7], v[96:97]
	v_add_f64 v[100:101], v[100:101], v[94:95]
	v_add_f64 v[100:101], v[100:101], v[82:83]
	;; [unrolled: 1-line block ×4, first 2 shown]
	v_add_f64 v[82:83], v[82:83], -v[86:87]
	v_add_f64 v[102:103], v[148:149], v[162:163]
	v_fma_f64 v[100:101], v[100:101], -0.5, v[98:99]
	v_fma_f64 v[88:89], v[84:85], s[0:1], v[100:101]
	v_fma_f64 v[100:101], v[84:85], s[8:9], v[100:101]
	;; [unrolled: 1-line block ×6, first 2 shown]
	v_add_f64 v[100:101], v[90:91], v[86:87]
	v_add_f64 v[90:91], v[94:95], -v[90:91]
	v_mul_f64 v[94:95], v[92:93], s[14:15]
	v_fma_f64 v[98:99], v[100:101], -0.5, v[98:99]
	v_add_f64 v[82:83], v[90:91], v[82:83]
	v_fma_f64 v[94:95], v[118:119], s[20:21], v[94:95]
	v_fma_f64 v[100:101], v[80:81], s[8:9], v[98:99]
	;; [unrolled: 1-line block ×3, first 2 shown]
	v_mul_f64 v[98:99], v[110:111], s[4:5]
	v_add_f64 v[116:117], v[142:143], v[94:95]
	v_fma_f64 v[100:101], v[84:85], s[4:5], v[100:101]
	v_fma_f64 v[80:81], v[84:85], s[14:15], v[80:81]
	;; [unrolled: 1-line block ×3, first 2 shown]
	v_add_f64 v[98:99], v[148:149], -v[162:163]
	v_add_f64 v[148:149], v[34:35], -v[22:23]
	v_fma_f64 v[86:87], v[82:83], s[6:7], v[100:101]
	v_fma_f64 v[80:81], v[82:83], s[6:7], v[80:81]
	v_mul_f64 v[82:83], v[88:89], s[14:15]
	v_add_f64 v[106:107], v[152:153], v[164:165]
	v_add_f64 v[100:101], v[140:141], v[160:161]
	v_mul_f64 v[84:85], v[86:87], s[8:9]
	v_mul_f64 v[90:91], v[80:81], s[8:9]
	v_mul_f64 v[80:81], v[80:81], s[18:19]
	v_fma_f64 v[82:83], v[110:111], s[16:17], v[82:83]
	v_mul_f64 v[86:87], v[86:87], s[6:7]
	v_fma_f64 v[84:85], v[114:115], s[6:7], v[84:85]
	v_fma_f64 v[90:91], v[96:97], s[18:19], v[90:91]
	v_fma_f64 v[166:167], v[96:97], s[0:1], v[80:81]
	v_mul_f64 v[80:81], v[92:93], s[20:21]
	v_add_f64 v[104:105], v[146:147], v[82:83]
	v_add_f64 v[92:93], v[146:147], -v[82:83]
	v_add_f64 v[146:147], v[30:31], -v[26:27]
	;; [unrolled: 1-line block ×3, first 2 shown]
	v_add_f64 v[140:141], v[36:37], v[28:29]
	v_fma_f64 v[86:87], v[114:115], s[0:1], v[86:87]
	v_add_f64 v[108:109], v[150:151], v[84:85]
	v_add_f64 v[112:113], v[144:145], v[90:91]
	v_add_f64 v[88:89], v[150:151], -v[84:85]
	v_fma_f64 v[168:169], v[118:119], s[4:5], v[80:81]
	v_add_f64 v[80:81], v[142:143], -v[94:95]
	v_add_f64 v[142:143], v[32:33], v[20:21]
	v_add_f64 v[84:85], v[144:145], -v[90:91]
	v_add_f64 v[94:95], v[152:153], -v[164:165]
	;; [unrolled: 1-line block ×4, first 2 shown]
	v_add_f64 v[140:141], v[140:141], v[32:33]
	v_add_f64 v[110:111], v[156:157], v[86:87]
	v_add_f64 v[90:91], v[156:157], -v[86:87]
	v_add_f64 v[114:115], v[158:159], v[166:167]
	v_add_f64 v[86:87], v[158:159], -v[166:167]
	;; [unrolled: 2-line block ×3, first 2 shown]
	v_fma_f64 v[144:145], v[142:143], -0.5, v[36:37]
	v_add_f64 v[154:155], v[20:21], -v[24:25]
	v_mov_b32_e32 v168, 0xcccd
	v_add_f64 v[150:151], v[150:151], v[152:153]
	v_add_f64 v[140:141], v[140:141], v[20:21]
	v_add_f64 v[152:153], v[32:33], -v[28:29]
	v_add_f64 v[32:33], v[32:33], -v[20:21]
	v_fma_f64 v[142:143], v[146:147], s[8:9], v[144:145]
	v_fma_f64 v[144:145], v[146:147], s[0:1], v[144:145]
	v_add_f64 v[140:141], v[140:141], v[24:25]
	v_add_f64 v[152:153], v[152:153], v[154:155]
	v_add_f64 v[154:155], v[0:1], -v[4:5]
	v_fma_f64 v[142:143], v[148:149], s[14:15], v[142:143]
	v_fma_f64 v[144:145], v[148:149], s[4:5], v[144:145]
	;; [unrolled: 1-line block ×4, first 2 shown]
	v_add_f64 v[150:151], v[28:29], v[24:25]
	v_add_f64 v[28:29], v[28:29], -v[24:25]
	v_fma_f64 v[150:151], v[150:151], -0.5, v[36:37]
	v_fma_f64 v[36:37], v[148:149], s[0:1], v[150:151]
	v_fma_f64 v[148:149], v[148:149], s[8:9], v[150:151]
	v_add_f64 v[150:151], v[34:35], v[22:23]
	v_fma_f64 v[36:37], v[146:147], s[14:15], v[36:37]
	v_fma_f64 v[146:147], v[146:147], s[4:5], v[148:149]
	v_fma_f64 v[150:151], v[150:151], -0.5, v[38:39]
	v_add_f64 v[148:149], v[38:39], v[30:31]
	v_fma_f64 v[36:37], v[152:153], s[6:7], v[36:37]
	v_fma_f64 v[146:147], v[152:153], s[6:7], v[146:147]
	;; [unrolled: 1-line block ×3, first 2 shown]
	v_add_f64 v[152:153], v[26:27], -v[22:23]
	v_fma_f64 v[150:151], v[28:29], s[8:9], v[150:151]
	v_add_f64 v[148:149], v[148:149], v[34:35]
	v_fma_f64 v[20:21], v[32:33], s[4:5], v[24:25]
	v_add_f64 v[24:25], v[30:31], -v[34:35]
	v_fma_f64 v[150:151], v[32:33], s[14:15], v[150:151]
	v_add_f64 v[148:149], v[148:149], v[22:23]
	v_add_f64 v[22:23], v[22:23], -v[26:27]
	v_add_f64 v[24:25], v[24:25], v[152:153]
	v_add_f64 v[152:153], v[4:5], -v[0:1]
	v_add_f64 v[148:149], v[148:149], v[26:27]
	v_fma_f64 v[20:21], v[24:25], s[6:7], v[20:21]
	v_fma_f64 v[24:25], v[24:25], s[6:7], v[150:151]
	v_add_f64 v[150:151], v[30:31], v[26:27]
	v_add_f64 v[30:31], v[34:35], -v[30:31]
	v_add_f64 v[34:35], v[8:9], -v[12:13]
	v_fma_f64 v[38:39], v[150:151], -0.5, v[38:39]
	v_add_f64 v[22:23], v[30:31], v[22:23]
	v_add_f64 v[34:35], v[34:35], v[152:153]
	v_add_f64 v[152:153], v[12:13], -v[8:9]
	v_fma_f64 v[26:27], v[32:33], s[0:1], v[38:39]
	v_fma_f64 v[150:151], v[32:33], s[8:9], v[38:39]
	v_add_f64 v[32:33], v[14:15], -v[2:3]
	v_add_f64 v[152:153], v[152:153], v[154:155]
	v_fma_f64 v[26:27], v[28:29], s[14:15], v[26:27]
	v_fma_f64 v[150:151], v[28:29], s[4:5], v[150:151]
	v_add_f64 v[28:29], v[10:11], -v[6:7]
	v_fma_f64 v[38:39], v[22:23], s[6:7], v[26:27]
	v_add_f64 v[26:27], v[12:13], v[0:1]
	v_fma_f64 v[150:151], v[22:23], s[6:7], v[150:151]
	v_add_f64 v[22:23], v[16:17], v[8:9]
	v_fma_f64 v[26:27], v[26:27], -0.5, v[16:17]
	v_add_f64 v[22:23], v[22:23], v[12:13]
	v_fma_f64 v[30:31], v[28:29], s[8:9], v[26:27]
	v_fma_f64 v[26:27], v[28:29], s[0:1], v[26:27]
	v_add_f64 v[22:23], v[22:23], v[0:1]
	v_add_f64 v[0:1], v[12:13], -v[0:1]
	v_add_f64 v[12:13], v[10:11], -v[14:15]
	v_fma_f64 v[30:31], v[32:33], s[14:15], v[30:31]
	v_fma_f64 v[26:27], v[32:33], s[4:5], v[26:27]
	v_add_f64 v[22:23], v[22:23], v[4:5]
	v_fma_f64 v[30:31], v[34:35], s[6:7], v[30:31]
	v_fma_f64 v[26:27], v[34:35], s[6:7], v[26:27]
	v_add_f64 v[34:35], v[8:9], v[4:5]
	v_add_f64 v[4:5], v[8:9], -v[4:5]
	v_fma_f64 v[16:17], v[34:35], -0.5, v[16:17]
	v_fma_f64 v[34:35], v[32:33], s[0:1], v[16:17]
	v_fma_f64 v[16:17], v[32:33], s[8:9], v[16:17]
	;; [unrolled: 1-line block ×6, first 2 shown]
	v_add_f64 v[16:17], v[18:19], v[10:11]
	v_add_f64 v[152:153], v[6:7], -v[2:3]
	v_add_f64 v[16:17], v[16:17], v[14:15]
	v_add_f64 v[12:13], v[12:13], v[152:153]
	;; [unrolled: 1-line block ×5, first 2 shown]
	v_add_f64 v[2:3], v[2:3], -v[6:7]
	v_fma_f64 v[16:17], v[16:17], -0.5, v[18:19]
	v_fma_f64 v[8:9], v[4:5], s[0:1], v[16:17]
	v_fma_f64 v[8:9], v[0:1], s[4:5], v[8:9]
	;; [unrolled: 1-line block ×6, first 2 shown]
	v_add_f64 v[8:9], v[10:11], v[6:7]
	v_add_f64 v[10:11], v[14:15], -v[10:11]
	v_mul_f64 v[6:7], v[30:31], s[4:5]
	v_fma_f64 v[8:9], v[8:9], -0.5, v[18:19]
	v_add_f64 v[2:3], v[10:11], v[2:3]
	v_mul_f64 v[18:19], v[154:155], s[20:21]
	v_fma_f64 v[12:13], v[0:1], s[8:9], v[8:9]
	v_fma_f64 v[0:1], v[0:1], s[0:1], v[8:9]
	;; [unrolled: 1-line block ×6, first 2 shown]
	v_mul_f64 v[2:3], v[152:153], s[14:15]
	v_fma_f64 v[152:153], v[152:153], s[16:17], v[6:7]
	v_add_f64 v[0:1], v[140:141], v[22:23]
	v_fma_f64 v[156:157], v[30:31], s[16:17], v[2:3]
	v_mul_f64 v[2:3], v[10:11], s[8:9]
	v_mul_f64 v[10:11], v[10:11], s[6:7]
	v_add_f64 v[6:7], v[20:21], v[152:153]
	v_add_f64 v[4:5], v[142:143], v[156:157]
	v_fma_f64 v[158:159], v[34:35], s[6:7], v[2:3]
	v_mul_f64 v[2:3], v[14:15], s[8:9]
	v_mul_f64 v[14:15], v[14:15], s[18:19]
	v_fma_f64 v[164:165], v[34:35], s[0:1], v[10:11]
	v_add_f64 v[30:31], v[142:143], -v[156:157]
	s_mov_b32 s6, 0xe8584caa
	s_mov_b32 s7, 0xbfebb67a
	v_add_f64 v[8:9], v[36:37], v[158:159]
	v_fma_f64 v[160:161], v[28:29], s[18:19], v[2:3]
	v_mul_f64 v[2:3], v[154:155], s[14:15]
	v_fma_f64 v[166:167], v[28:29], s[0:1], v[14:15]
	v_fma_f64 v[154:155], v[26:27], s[4:5], v[18:19]
	v_add_f64 v[28:29], v[148:149], -v[32:33]
	v_add_f64 v[10:11], v[150:151], v[164:165]
	v_add_f64 v[34:35], v[36:37], -v[158:159]
	v_add_f64 v[36:37], v[150:151], -v[164:165]
	s_mov_b32 s5, 0x3febb67a
	s_mov_b32 s4, s6
	v_cmp_gt_u32_e64 s0, 60, v120
	v_add_f64 v[12:13], v[146:147], v[160:161]
	v_fma_f64 v[162:163], v[26:27], s[20:21], v[2:3]
	v_add_f64 v[2:3], v[148:149], v[32:33]
	v_add_f64 v[32:33], v[20:21], -v[152:153]
	v_mul_u32_u24_e32 v20, 10, v120
	v_add_f64 v[26:27], v[140:141], -v[22:23]
	v_add_f64 v[140:141], v[146:147], -v[160:161]
	v_add_f64 v[14:15], v[38:39], v[166:167]
	v_add_f64 v[18:19], v[24:25], v[154:155]
	v_lshl_add_u32 v20, v20, 4, 0
	v_add_f64 v[142:143], v[38:39], -v[166:167]
	v_add_f64 v[24:25], v[24:25], -v[154:155]
	v_add_f64 v[16:17], v[144:145], v[162:163]
	v_add_f64 v[22:23], v[144:145], -v[162:163]
	ds_write_b128 v20, v[60:63]
	ds_write_b128 v20, v[64:67] offset:16
	ds_write_b128 v20, v[68:71] offset:32
	;; [unrolled: 1-line block ×29, first 2 shown]
	v_and_b32_e32 v140, 0xff, v120
	s_waitcnt lgkmcnt(0)
	s_barrier
	buffer_gl0_inv
	ds_read_b128 v[16:19], v170
	ds_read_b128 v[116:119], v170 offset:7680
	ds_read_b128 v[112:115], v170 offset:15360
	;; [unrolled: 1-line block ×29, first 2 shown]
	v_mul_lo_u16 v140, 0xcd, v140
	v_lshrrev_b16 v178, 11, v140
	v_mul_lo_u16 v140, v178, 10
	v_sub_nc_u16 v190, v120, v140
	v_mul_u32_u24_sdwa v140, v190, v179 dst_sel:DWORD dst_unused:UNUSED_PAD src0_sel:BYTE_0 src1_sel:DWORD
	v_lshlrev_b32_e32 v160, 4, v140
	s_clause 0x3
	global_load_dwordx4 v[140:143], v160, s[12:13] offset:48
	global_load_dwordx4 v[144:147], v160, s[12:13] offset:32
	;; [unrolled: 1-line block ×3, first 2 shown]
	global_load_dwordx4 v[156:159], v160, s[12:13]
	s_waitcnt vmcnt(0) lgkmcnt(28)
	v_mul_f64 v[148:149], v[118:119], v[158:159]
	v_fma_f64 v[150:151], v[116:117], v[156:157], v[148:149]
	v_mul_f64 v[116:117], v[116:117], v[158:159]
	v_fma_f64 v[116:117], v[118:119], v[156:157], -v[116:117]
	s_waitcnt lgkmcnt(27)
	v_mul_f64 v[118:119], v[114:115], v[154:155]
	v_fma_f64 v[118:119], v[112:113], v[152:153], v[118:119]
	v_mul_f64 v[112:113], v[112:113], v[154:155]
	v_fma_f64 v[114:115], v[114:115], v[152:153], -v[112:113]
	s_waitcnt lgkmcnt(26)
	;; [unrolled: 5-line block ×3, first 2 shown]
	v_mul_f64 v[110:111], v[106:107], v[142:143]
	v_fma_f64 v[110:111], v[104:105], v[140:141], v[110:111]
	v_mul_f64 v[104:105], v[104:105], v[142:143]
	v_fma_f64 v[162:163], v[106:107], v[140:141], -v[104:105]
	global_load_dwordx4 v[140:143], v160, s[12:13] offset:64
	s_waitcnt vmcnt(0) lgkmcnt(24)
	v_mul_f64 v[104:105], v[102:103], v[142:143]
	v_fma_f64 v[104:105], v[100:101], v[140:141], v[104:105]
	v_mul_f64 v[100:101], v[100:101], v[142:143]
	v_fma_f64 v[106:107], v[102:103], v[140:141], -v[100:101]
	v_mul_lo_u16 v100, 0xcd, v181
	v_lshrrev_b16 v188, 11, v100
	v_mul_lo_u16 v100, v188, 10
	v_sub_nc_u16 v189, v180, v100
	v_mul_u32_u24_sdwa v100, v189, v179 dst_sel:DWORD dst_unused:UNUSED_PAD src0_sel:BYTE_0 src1_sel:DWORD
	v_lshlrev_b32_e32 v102, 4, v100
	s_clause 0x3
	global_load_dwordx4 v[140:143], v102, s[12:13] offset:48
	global_load_dwordx4 v[144:147], v102, s[12:13] offset:32
	;; [unrolled: 1-line block ×3, first 2 shown]
	global_load_dwordx4 v[156:159], v102, s[12:13]
	s_waitcnt vmcnt(0) lgkmcnt(22)
	v_mul_f64 v[100:101], v[98:99], v[158:159]
	v_fma_f64 v[100:101], v[96:97], v[156:157], v[100:101]
	v_mul_f64 v[96:97], v[96:97], v[158:159]
	v_fma_f64 v[96:97], v[98:99], v[156:157], -v[96:97]
	s_waitcnt lgkmcnt(21)
	v_mul_f64 v[98:99], v[94:95], v[154:155]
	v_fma_f64 v[98:99], v[92:93], v[152:153], v[98:99]
	v_mul_f64 v[92:93], v[92:93], v[154:155]
	v_fma_f64 v[94:95], v[94:95], v[152:153], -v[92:93]
	s_waitcnt lgkmcnt(20)
	;; [unrolled: 5-line block ×3, first 2 shown]
	v_mul_f64 v[90:91], v[86:87], v[142:143]
	v_fma_f64 v[90:91], v[84:85], v[140:141], v[90:91]
	v_mul_f64 v[84:85], v[84:85], v[142:143]
	v_fma_f64 v[84:85], v[86:87], v[140:141], -v[84:85]
	global_load_dwordx4 v[140:143], v102, s[12:13] offset:64
	s_waitcnt vmcnt(0) lgkmcnt(18)
	v_mul_f64 v[86:87], v[82:83], v[142:143]
	v_fma_f64 v[86:87], v[80:81], v[140:141], v[86:87]
	v_mul_f64 v[80:81], v[80:81], v[142:143]
	v_fma_f64 v[102:103], v[82:83], v[140:141], -v[80:81]
	v_mul_u32_u24_sdwa v80, v177, v168 dst_sel:DWORD dst_unused:UNUSED_PAD src0_sel:WORD_0 src1_sel:DWORD
	v_lshrrev_b32_e32 v186, 19, v80
	v_mul_lo_u16 v80, v186, 10
	v_sub_nc_u16 v187, v177, v80
	v_mul_u32_u24_sdwa v80, v187, v179 dst_sel:DWORD dst_unused:UNUSED_PAD src0_sel:WORD_0 src1_sel:DWORD
	v_lshlrev_b32_e32 v160, 4, v80
	s_clause 0x3
	global_load_dwordx4 v[80:83], v160, s[12:13] offset:48
	global_load_dwordx4 v[152:155], v160, s[12:13] offset:32
	;; [unrolled: 1-line block ×3, first 2 shown]
	global_load_dwordx4 v[144:147], v160, s[12:13]
	s_waitcnt vmcnt(0) lgkmcnt(16)
	v_mul_f64 v[140:141], v[78:79], v[146:147]
	v_fma_f64 v[142:143], v[76:77], v[144:145], v[140:141]
	v_mul_f64 v[76:77], v[76:77], v[146:147]
	v_fma_f64 v[140:141], v[78:79], v[144:145], -v[76:77]
	s_waitcnt lgkmcnt(15)
	v_mul_f64 v[76:77], v[74:75], v[158:159]
	v_fma_f64 v[146:147], v[72:73], v[156:157], v[76:77]
	v_mul_f64 v[72:73], v[72:73], v[158:159]
	v_fma_f64 v[148:149], v[74:75], v[156:157], -v[72:73]
	s_waitcnt lgkmcnt(14)
	v_mul_f64 v[72:73], v[70:71], v[154:155]
	v_fma_f64 v[144:145], v[68:69], v[152:153], v[72:73]
	global_load_dwordx4 v[72:75], v160, s[12:13] offset:64
	v_mul_f64 v[68:69], v[68:69], v[154:155]
	v_fma_f64 v[68:69], v[70:71], v[152:153], -v[68:69]
	s_waitcnt lgkmcnt(13)
	v_mul_f64 v[70:71], v[66:67], v[82:83]
	v_fma_f64 v[70:71], v[64:65], v[80:81], v[70:71]
	v_mul_f64 v[64:65], v[64:65], v[82:83]
	v_fma_f64 v[66:67], v[66:67], v[80:81], -v[64:65]
	s_waitcnt vmcnt(0) lgkmcnt(12)
	v_mul_f64 v[64:65], v[62:63], v[74:75]
	v_fma_f64 v[64:65], v[60:61], v[72:73], v[64:65]
	v_mul_f64 v[60:61], v[60:61], v[74:75]
	v_fma_f64 v[60:61], v[62:63], v[72:73], -v[60:61]
	v_mul_u32_u24_sdwa v62, v172, v168 dst_sel:DWORD dst_unused:UNUSED_PAD src0_sel:WORD_0 src1_sel:DWORD
	v_lshrrev_b32_e32 v182, 19, v62
	v_mul_lo_u16 v62, v182, 10
	v_sub_nc_u16 v183, v172, v62
	v_mul_u32_u24_sdwa v62, v183, v179 dst_sel:DWORD dst_unused:UNUSED_PAD src0_sel:WORD_0 src1_sel:DWORD
	v_lshlrev_b32_e32 v169, 4, v62
	s_clause 0x3
	global_load_dwordx4 v[72:75], v169, s[12:13] offset:48
	global_load_dwordx4 v[76:79], v169, s[12:13] offset:32
	;; [unrolled: 1-line block ×3, first 2 shown]
	global_load_dwordx4 v[156:159], v169, s[12:13]
	s_waitcnt vmcnt(0) lgkmcnt(10)
	v_mul_f64 v[62:63], v[58:59], v[158:159]
	v_fma_f64 v[154:155], v[56:57], v[156:157], v[62:63]
	v_mul_f64 v[56:57], v[56:57], v[158:159]
	v_fma_f64 v[152:153], v[58:59], v[156:157], -v[56:57]
	s_waitcnt lgkmcnt(9)
	v_mul_f64 v[56:57], v[54:55], v[82:83]
	v_fma_f64 v[158:159], v[52:53], v[80:81], v[56:57]
	v_mul_f64 v[52:53], v[52:53], v[82:83]
	v_fma_f64 v[164:165], v[54:55], v[80:81], -v[52:53]
	s_waitcnt lgkmcnt(8)
	v_mul_f64 v[52:53], v[50:51], v[78:79]
	v_fma_f64 v[156:157], v[48:49], v[76:77], v[52:53]
	v_mul_f64 v[48:49], v[48:49], v[78:79]
	v_fma_f64 v[160:161], v[50:51], v[76:77], -v[48:49]
	s_waitcnt lgkmcnt(7)
	v_mul_f64 v[48:49], v[46:47], v[74:75]
	v_fma_f64 v[166:167], v[44:45], v[72:73], v[48:49]
	global_load_dwordx4 v[48:51], v169, s[12:13] offset:64
	v_mul_f64 v[44:45], v[44:45], v[74:75]
	v_fma_f64 v[44:45], v[46:47], v[72:73], -v[44:45]
	s_waitcnt vmcnt(0) lgkmcnt(6)
	v_mul_f64 v[46:47], v[42:43], v[50:51]
	v_fma_f64 v[46:47], v[40:41], v[48:49], v[46:47]
	v_mul_f64 v[40:41], v[40:41], v[50:51]
	v_fma_f64 v[40:41], v[42:43], v[48:49], -v[40:41]
	v_mul_u32_u24_sdwa v42, v139, v168 dst_sel:DWORD dst_unused:UNUSED_PAD src0_sel:WORD_0 src1_sel:DWORD
	v_lshrrev_b32_e32 v184, 19, v42
	v_mul_lo_u16 v42, v184, 10
	v_sub_nc_u16 v185, v139, v42
	v_mul_u32_u24_sdwa v42, v185, v179 dst_sel:DWORD dst_unused:UNUSED_PAD src0_sel:WORD_0 src1_sel:DWORD
	v_lshlrev_b32_e32 v62, 4, v42
	s_clause 0x3
	global_load_dwordx4 v[48:51], v62, s[12:13] offset:48
	global_load_dwordx4 v[52:55], v62, s[12:13] offset:32
	;; [unrolled: 1-line block ×3, first 2 shown]
	global_load_dwordx4 v[72:75], v62, s[12:13]
	s_waitcnt vmcnt(0) lgkmcnt(4)
	v_mul_f64 v[42:43], v[38:39], v[74:75]
	v_fma_f64 v[191:192], v[36:37], v[72:73], v[42:43]
	v_mul_f64 v[36:37], v[36:37], v[74:75]
	v_add_f64 v[42:43], v[112:113], -v[104:105]
	v_fma_f64 v[168:169], v[38:39], v[72:73], -v[36:37]
	s_waitcnt lgkmcnt(3)
	v_mul_f64 v[36:37], v[34:35], v[58:59]
	v_add_f64 v[38:39], v[108:109], v[106:107]
	v_fma_f64 v[193:194], v[32:33], v[56:57], v[36:37]
	v_mul_f64 v[32:33], v[32:33], v[58:59]
	v_fma_f64 v[38:39], v[38:39], -0.5, v[116:117]
	v_fma_f64 v[195:196], v[34:35], v[56:57], -v[32:33]
	s_waitcnt lgkmcnt(2)
	v_mul_f64 v[32:33], v[30:31], v[54:55]
	v_add_f64 v[34:35], v[108:109], -v[106:107]
	v_fma_f64 v[197:198], v[28:29], v[52:53], v[32:33]
	v_mul_f64 v[28:29], v[28:29], v[54:55]
	v_add_f64 v[32:33], v[112:113], v[104:105]
	v_fma_f64 v[199:200], v[30:31], v[52:53], -v[28:29]
	s_waitcnt lgkmcnt(1)
	v_mul_f64 v[28:29], v[26:27], v[50:51]
	v_fma_f64 v[32:33], v[32:33], -0.5, v[150:151]
	v_fma_f64 v[201:202], v[24:25], v[48:49], v[28:29]
	v_mul_f64 v[24:25], v[24:25], v[50:51]
	v_fma_f64 v[36:37], v[34:35], s[6:7], v[32:33]
	v_fma_f64 v[32:33], v[34:35], s[4:5], v[32:33]
	v_add_f64 v[34:35], v[116:117], v[108:109]
	v_fma_f64 v[203:204], v[26:27], v[48:49], -v[24:25]
	global_load_dwordx4 v[24:27], v62, s[12:13] offset:64
	v_fma_f64 v[48:49], v[42:43], s[4:5], v[38:39]
	v_fma_f64 v[38:39], v[42:43], s[6:7], v[38:39]
	v_add_f64 v[34:35], v[34:35], v[106:107]
	s_waitcnt vmcnt(0) lgkmcnt(0)
	s_barrier
	buffer_gl0_inv
	v_mul_f64 v[42:43], v[48:49], s[6:7]
	v_mul_f64 v[50:51], v[38:39], s[6:7]
	v_mul_f64 v[38:39], v[38:39], -0.5
	v_mul_f64 v[48:49], v[48:49], 0.5
	v_fma_f64 v[42:43], v[36:37], 0.5, v[42:43]
	v_fma_f64 v[50:51], v[32:33], -0.5, v[50:51]
	v_fma_f64 v[32:33], v[32:33], s[4:5], v[38:39]
	v_fma_f64 v[36:37], v[36:37], s[4:5], v[48:49]
	v_mul_f64 v[28:29], v[22:23], v[26:27]
	v_fma_f64 v[205:206], v[20:21], v[24:25], v[28:29]
	v_mul_f64 v[20:21], v[20:21], v[26:27]
	v_add_f64 v[28:29], v[114:115], v[162:163]
	v_fma_f64 v[20:21], v[22:23], v[24:25], -v[20:21]
	v_add_f64 v[24:25], v[118:119], v[110:111]
	v_add_f64 v[22:23], v[16:17], v[118:119]
	v_fma_f64 v[16:17], v[24:25], -0.5, v[16:17]
	v_add_f64 v[24:25], v[114:115], -v[162:163]
	v_add_f64 v[22:23], v[22:23], v[110:111]
	v_fma_f64 v[26:27], v[24:25], s[6:7], v[16:17]
	v_fma_f64 v[16:17], v[24:25], s[4:5], v[16:17]
	v_add_f64 v[24:25], v[18:19], v[114:115]
	v_fma_f64 v[18:19], v[28:29], -0.5, v[18:19]
	v_add_f64 v[28:29], v[118:119], -v[110:111]
	v_add_f64 v[76:77], v[26:27], v[42:43]
	v_add_f64 v[80:81], v[16:17], v[50:51]
	;; [unrolled: 1-line block ×3, first 2 shown]
	v_add_f64 v[108:109], v[16:17], -v[50:51]
	v_fma_f64 v[30:31], v[28:29], s[4:5], v[18:19]
	v_fma_f64 v[18:19], v[28:29], s[6:7], v[18:19]
	v_add_f64 v[28:29], v[150:151], v[112:113]
	v_add_f64 v[16:17], v[12:13], v[98:99]
	v_add_f64 v[112:113], v[26:27], -v[42:43]
	v_add_f64 v[74:75], v[24:25], v[34:35]
	v_add_f64 v[118:119], v[24:25], -v[34:35]
	v_add_f64 v[34:35], v[88:89], v[102:103]
	v_add_f64 v[82:83], v[18:19], v[32:33]
	;; [unrolled: 1-line block ×3, first 2 shown]
	v_add_f64 v[110:111], v[18:19], -v[32:33]
	v_add_f64 v[18:19], v[98:99], v[90:91]
	v_add_f64 v[78:79], v[30:31], v[36:37]
	v_add_f64 v[114:115], v[30:31], -v[36:37]
	v_add_f64 v[24:25], v[94:95], v[84:85]
	v_add_f64 v[36:37], v[92:93], -v[86:87]
	v_add_f64 v[30:31], v[88:89], -v[102:103]
	v_add_f64 v[16:17], v[16:17], v[90:91]
	v_fma_f64 v[34:35], v[34:35], -0.5, v[96:97]
	v_add_f64 v[72:73], v[22:23], v[28:29]
	v_add_f64 v[116:117], v[22:23], -v[28:29]
	v_fma_f64 v[12:13], v[18:19], -0.5, v[12:13]
	v_add_f64 v[18:19], v[94:95], -v[84:85]
	v_add_f64 v[28:29], v[92:93], v[86:87]
	v_fma_f64 v[38:39], v[36:37], s[4:5], v[34:35]
	v_fma_f64 v[34:35], v[36:37], s[6:7], v[34:35]
	;; [unrolled: 1-line block ×4, first 2 shown]
	v_add_f64 v[18:19], v[14:15], v[94:95]
	v_fma_f64 v[14:15], v[24:25], -0.5, v[14:15]
	v_add_f64 v[24:25], v[98:99], -v[90:91]
	v_fma_f64 v[28:29], v[28:29], -0.5, v[100:101]
	v_mul_f64 v[36:37], v[38:39], s[6:7]
	v_mul_f64 v[42:43], v[34:35], s[6:7]
	v_mul_f64 v[34:35], v[34:35], -0.5
	v_mul_f64 v[38:39], v[38:39], 0.5
	v_add_f64 v[18:19], v[18:19], v[84:85]
	v_fma_f64 v[26:27], v[24:25], s[4:5], v[14:15]
	v_fma_f64 v[14:15], v[24:25], s[6:7], v[14:15]
	v_add_f64 v[24:25], v[100:101], v[92:93]
	v_fma_f64 v[32:33], v[30:31], s[6:7], v[28:29]
	v_fma_f64 v[28:29], v[30:31], s[4:5], v[28:29]
	v_add_f64 v[30:31], v[96:97], v[88:89]
	v_add_f64 v[24:25], v[24:25], v[86:87]
	v_fma_f64 v[36:37], v[32:33], 0.5, v[36:37]
	v_fma_f64 v[42:43], v[28:29], -0.5, v[42:43]
	v_add_f64 v[30:31], v[30:31], v[102:103]
	v_fma_f64 v[28:29], v[28:29], s[4:5], v[34:35]
	v_fma_f64 v[32:33], v[32:33], s[4:5], v[38:39]
	v_add_f64 v[104:105], v[16:17], v[24:25]
	v_add_f64 v[100:101], v[16:17], -v[24:25]
	v_add_f64 v[24:25], v[144:145], v[64:65]
	v_add_f64 v[106:107], v[18:19], v[30:31]
	;; [unrolled: 1-line block ×3, first 2 shown]
	v_add_f64 v[102:103], v[18:19], -v[30:31]
	v_add_f64 v[86:87], v[14:15], -v[28:29]
	v_add_f64 v[14:15], v[146:147], v[70:71]
	v_add_f64 v[30:31], v[68:69], v[60:61]
	;; [unrolled: 1-line block ×4, first 2 shown]
	v_add_f64 v[84:85], v[12:13], -v[42:43]
	v_add_f64 v[90:91], v[26:27], -v[32:33]
	v_add_f64 v[12:13], v[8:9], v[146:147]
	v_add_f64 v[18:19], v[148:149], v[66:67]
	v_add_f64 v[26:27], v[68:69], -v[60:61]
	v_add_f64 v[32:33], v[144:145], -v[64:65]
	v_add_f64 v[96:97], v[22:23], v[36:37]
	v_add_f64 v[88:89], v[22:23], -v[36:37]
	v_fma_f64 v[24:25], v[24:25], -0.5, v[142:143]
	v_fma_f64 v[8:9], v[14:15], -0.5, v[8:9]
	v_add_f64 v[14:15], v[148:149], -v[66:67]
	v_fma_f64 v[30:31], v[30:31], -0.5, v[140:141]
	v_add_f64 v[12:13], v[12:13], v[70:71]
	v_fma_f64 v[28:29], v[26:27], s[6:7], v[24:25]
	v_fma_f64 v[24:25], v[26:27], s[4:5], v[24:25]
	v_add_f64 v[26:27], v[140:141], v[68:69]
	v_fma_f64 v[16:17], v[14:15], s[6:7], v[8:9]
	v_fma_f64 v[8:9], v[14:15], s[4:5], v[8:9]
	v_add_f64 v[14:15], v[10:11], v[148:149]
	v_fma_f64 v[10:11], v[18:19], -0.5, v[10:11]
	v_add_f64 v[18:19], v[146:147], -v[70:71]
	v_fma_f64 v[34:35], v[32:33], s[4:5], v[30:31]
	v_fma_f64 v[30:31], v[32:33], s[6:7], v[30:31]
	v_add_f64 v[26:27], v[26:27], v[60:61]
	v_add_f64 v[14:15], v[14:15], v[66:67]
	v_fma_f64 v[22:23], v[18:19], s[4:5], v[10:11]
	v_fma_f64 v[10:11], v[18:19], s[6:7], v[10:11]
	v_add_f64 v[18:19], v[142:143], v[144:145]
	v_mul_f64 v[32:33], v[34:35], s[6:7]
	v_mul_f64 v[34:35], v[34:35], 0.5
	v_mul_f64 v[36:37], v[30:31], s[6:7]
	v_mul_f64 v[30:31], v[30:31], -0.5
	v_add_f64 v[70:71], v[14:15], v[26:27]
	v_add_f64 v[66:67], v[14:15], -v[26:27]
	v_add_f64 v[26:27], v[160:161], v[40:41]
	v_add_f64 v[14:15], v[164:165], v[44:45]
	;; [unrolled: 1-line block ×3, first 2 shown]
	v_fma_f64 v[32:33], v[28:29], 0.5, v[32:33]
	v_fma_f64 v[28:29], v[28:29], s[4:5], v[34:35]
	v_fma_f64 v[36:37], v[24:25], -0.5, v[36:37]
	v_fma_f64 v[24:25], v[24:25], s[4:5], v[30:31]
	v_fma_f64 v[26:27], v[26:27], -0.5, v[152:153]
	v_add_f64 v[68:69], v[12:13], v[18:19]
	v_add_f64 v[64:65], v[12:13], -v[18:19]
	v_add_f64 v[62:63], v[22:23], v[28:29]
	v_add_f64 v[54:55], v[22:23], -v[28:29]
	;; [unrolled: 2-line block ×5, first 2 shown]
	v_add_f64 v[60:61], v[16:17], v[32:33]
	v_add_f64 v[56:57], v[8:9], v[36:37]
	v_add_f64 v[52:53], v[16:17], -v[32:33]
	v_add_f64 v[48:49], v[8:9], -v[36:37]
	v_add_f64 v[8:9], v[4:5], v[158:159]
	v_fma_f64 v[18:19], v[18:19], -0.5, v[154:155]
	v_fma_f64 v[30:31], v[28:29], s[4:5], v[26:27]
	v_fma_f64 v[26:27], v[28:29], s[6:7], v[26:27]
	v_fma_f64 v[4:5], v[10:11], -0.5, v[4:5]
	v_add_f64 v[10:11], v[164:165], -v[44:45]
	v_add_f64 v[8:9], v[8:9], v[166:167]
	v_fma_f64 v[24:25], v[22:23], s[6:7], v[18:19]
	v_fma_f64 v[18:19], v[22:23], s[4:5], v[18:19]
	v_mul_f64 v[28:29], v[30:31], s[6:7]
	v_mul_f64 v[32:33], v[26:27], s[6:7]
	v_mul_f64 v[30:31], v[30:31], 0.5
	v_fma_f64 v[12:13], v[10:11], s[6:7], v[4:5]
	v_fma_f64 v[4:5], v[10:11], s[4:5], v[4:5]
	v_add_f64 v[10:11], v[6:7], v[164:165]
	v_fma_f64 v[6:7], v[14:15], -0.5, v[6:7]
	v_add_f64 v[14:15], v[158:159], -v[166:167]
	v_add_f64 v[22:23], v[152:153], v[160:161]
	v_fma_f64 v[28:29], v[24:25], 0.5, v[28:29]
	v_fma_f64 v[42:43], v[18:19], -0.5, v[32:33]
	v_fma_f64 v[30:31], v[24:25], s[4:5], v[30:31]
	v_mul_f64 v[24:25], v[26:27], -0.5
	v_add_f64 v[10:11], v[10:11], v[44:45]
	v_fma_f64 v[16:17], v[14:15], s[4:5], v[6:7]
	v_fma_f64 v[6:7], v[14:15], s[6:7], v[6:7]
	v_add_f64 v[14:15], v[154:155], v[156:157]
	v_add_f64 v[22:23], v[22:23], v[40:41]
	;; [unrolled: 1-line block ×4, first 2 shown]
	v_add_f64 v[28:29], v[12:13], -v[28:29]
	v_fma_f64 v[18:19], v[18:19], s[4:5], v[24:25]
	v_add_f64 v[24:25], v[4:5], -v[42:43]
	v_add_f64 v[4:5], v[0:1], v[193:194]
	v_add_f64 v[38:39], v[16:17], v[30:31]
	v_add_f64 v[30:31], v[16:17], -v[30:31]
	v_add_f64 v[14:15], v[14:15], v[46:47]
	v_add_f64 v[46:47], v[10:11], v[22:23]
	v_add_f64 v[42:43], v[10:11], -v[22:23]
	v_add_f64 v[34:35], v[6:7], v[18:19]
	v_add_f64 v[26:27], v[6:7], -v[18:19]
	v_add_f64 v[12:13], v[4:5], v[201:202]
	v_add_f64 v[4:5], v[193:194], v[201:202]
	;; [unrolled: 1-line block ×3, first 2 shown]
	v_add_f64 v[40:41], v[8:9], -v[14:15]
	v_fma_f64 v[0:1], v[4:5], -0.5, v[0:1]
	v_add_f64 v[4:5], v[195:196], -v[203:204]
	v_fma_f64 v[14:15], v[4:5], s[6:7], v[0:1]
	v_fma_f64 v[18:19], v[4:5], s[4:5], v[0:1]
	v_add_f64 v[0:1], v[2:3], v[195:196]
	v_add_f64 v[22:23], v[0:1], v[203:204]
	;; [unrolled: 1-line block ×3, first 2 shown]
	v_fma_f64 v[0:1], v[0:1], -0.5, v[2:3]
	v_add_f64 v[2:3], v[193:194], -v[201:202]
	v_fma_f64 v[140:141], v[2:3], s[4:5], v[0:1]
	v_fma_f64 v[142:143], v[2:3], s[6:7], v[0:1]
	v_add_f64 v[0:1], v[191:192], v[197:198]
	v_add_f64 v[2:3], v[199:200], -v[20:21]
	v_add_f64 v[16:17], v[0:1], v[205:206]
	v_add_f64 v[0:1], v[197:198], v[205:206]
	v_fma_f64 v[0:1], v[0:1], -0.5, v[191:192]
	v_fma_f64 v[6:7], v[2:3], s[6:7], v[0:1]
	v_fma_f64 v[10:11], v[2:3], s[4:5], v[0:1]
	v_add_f64 v[0:1], v[168:169], v[199:200]
	v_add_f64 v[2:3], v[197:198], -v[205:206]
	v_add_f64 v[144:145], v[0:1], v[20:21]
	v_add_f64 v[0:1], v[199:200], v[20:21]
	v_fma_f64 v[0:1], v[0:1], -0.5, v[168:169]
	v_fma_f64 v[20:21], v[2:3], s[4:5], v[0:1]
	v_fma_f64 v[146:147], v[2:3], s[6:7], v[0:1]
	v_add_f64 v[0:1], v[12:13], v[16:17]
	v_mul_f64 v[2:3], v[20:21], s[6:7]
	v_mul_f64 v[20:21], v[20:21], 0.5
	v_fma_f64 v[148:149], v[6:7], 0.5, v[2:3]
	v_mul_f64 v[2:3], v[146:147], s[6:7]
	v_fma_f64 v[152:153], v[6:7], s[4:5], v[20:21]
	v_mul_f64 v[20:21], v[146:147], -0.5
	v_add_f64 v[4:5], v[14:15], v[148:149]
	v_fma_f64 v[150:151], v[10:11], -0.5, v[2:3]
	v_add_f64 v[6:7], v[140:141], v[152:153]
	v_fma_f64 v[146:147], v[10:11], s[4:5], v[20:21]
	v_add_f64 v[20:21], v[12:13], -v[16:17]
	v_add_f64 v[16:17], v[14:15], -v[148:149]
	v_add_f64 v[2:3], v[22:23], v[144:145]
	v_add_f64 v[22:23], v[22:23], -v[144:145]
	v_add_f64 v[8:9], v[18:19], v[150:151]
	v_add_f64 v[12:13], v[18:19], -v[150:151]
	v_add_f64 v[18:19], v[140:141], -v[152:153]
	v_mov_b32_e32 v140, 0x3c0
	v_add_f64 v[10:11], v[142:143], v[146:147]
	v_add_f64 v[14:15], v[142:143], -v[146:147]
	v_mul_u32_u24_sdwa v141, v178, v140 dst_sel:DWORD dst_unused:UNUSED_PAD src0_sel:WORD_0 src1_sel:DWORD
	v_mov_b32_e32 v178, 4
	v_lshlrev_b32_sdwa v142, v178, v190 dst_sel:DWORD dst_unused:UNUSED_PAD src0_sel:DWORD src1_sel:BYTE_0
	v_add3_u32 v141, 0, v141, v142
	ds_write_b128 v141, v[72:75]
	ds_write_b128 v141, v[76:79] offset:160
	ds_write_b128 v141, v[80:83] offset:320
	ds_write_b128 v141, v[116:119] offset:480
	ds_write_b128 v141, v[112:115] offset:640
	ds_write_b128 v141, v[108:111] offset:800
	v_mul_u32_u24_sdwa v72, v188, v140 dst_sel:DWORD dst_unused:UNUSED_PAD src0_sel:WORD_0 src1_sel:DWORD
	v_lshlrev_b32_sdwa v73, v178, v189 dst_sel:DWORD dst_unused:UNUSED_PAD src0_sel:DWORD src1_sel:BYTE_0
	v_subrev_nc_u32_e32 v140, 60, v120
	v_mov_b32_e32 v141, v121
	v_add3_u32 v72, 0, v72, v73
	ds_write_b128 v72, v[104:107]
	ds_write_b128 v72, v[96:99] offset:160
	ds_write_b128 v72, v[92:95] offset:320
	;; [unrolled: 1-line block ×5, first 2 shown]
	v_mul_u32_u24_e32 v72, 0x3c0, v186
	v_lshlrev_b32_sdwa v73, v178, v187 dst_sel:DWORD dst_unused:UNUSED_PAD src0_sel:DWORD src1_sel:WORD_0
	v_cndmask_b32_e64 v186, v140, v120, s0
	v_add3_u32 v72, 0, v72, v73
	ds_write_b128 v72, v[68:71]
	ds_write_b128 v72, v[60:63] offset:160
	ds_write_b128 v72, v[56:59] offset:320
	;; [unrolled: 1-line block ×5, first 2 shown]
	v_mul_u32_u24_e32 v48, 0x3c0, v182
	v_lshlrev_b32_sdwa v49, v178, v183 dst_sel:DWORD dst_unused:UNUSED_PAD src0_sel:DWORD src1_sel:WORD_0
	v_mul_i32_i24_e32 v140, 5, v186
	v_add3_u32 v48, 0, v48, v49
	v_lshlrev_b64 v[140:141], 4, v[140:141]
	ds_write_b128 v48, v[44:47]
	ds_write_b128 v48, v[36:39] offset:160
	ds_write_b128 v48, v[32:35] offset:320
	;; [unrolled: 1-line block ×5, first 2 shown]
	v_mul_u32_u24_e32 v24, 0x3c0, v184
	v_lshlrev_b32_sdwa v25, v178, v185 dst_sel:DWORD dst_unused:UNUSED_PAD src0_sel:DWORD src1_sel:WORD_0
	v_add_co_u32 v158, s0, s12, v140
	v_add_co_ci_u32_e64 v159, s0, s13, v141, s0
	v_add3_u32 v24, 0, v24, v25
	ds_write_b128 v24, v[0:3]
	ds_write_b128 v24, v[4:7] offset:160
	ds_write_b128 v24, v[8:11] offset:320
	;; [unrolled: 1-line block ×5, first 2 shown]
	s_waitcnt lgkmcnt(0)
	s_barrier
	buffer_gl0_inv
	ds_read_b128 v[16:19], v170
	ds_read_b128 v[116:119], v170 offset:7680
	ds_read_b128 v[112:115], v170 offset:15360
	;; [unrolled: 1-line block ×29, first 2 shown]
	s_clause 0x3
	global_load_dwordx4 v[140:143], v[158:159], off offset:848
	global_load_dwordx4 v[144:147], v[158:159], off offset:832
	;; [unrolled: 1-line block ×4, first 2 shown]
	v_cmp_lt_u32_e64 s0, 59, v120
	s_waitcnt vmcnt(0) lgkmcnt(28)
	v_mul_f64 v[148:149], v[118:119], v[156:157]
	v_fma_f64 v[148:149], v[116:117], v[154:155], v[148:149]
	v_mul_f64 v[116:117], v[116:117], v[156:157]
	v_fma_f64 v[116:117], v[118:119], v[154:155], -v[116:117]
	s_waitcnt lgkmcnt(27)
	v_mul_f64 v[118:119], v[114:115], v[152:153]
	v_fma_f64 v[118:119], v[112:113], v[150:151], v[118:119]
	v_mul_f64 v[112:113], v[112:113], v[152:153]
	v_fma_f64 v[114:115], v[114:115], v[150:151], -v[112:113]
	s_waitcnt lgkmcnt(26)
	;; [unrolled: 5-line block ×3, first 2 shown]
	v_mul_f64 v[110:111], v[106:107], v[142:143]
	v_fma_f64 v[156:157], v[104:105], v[140:141], v[110:111]
	v_mul_f64 v[104:105], v[104:105], v[142:143]
	v_fma_f64 v[162:163], v[106:107], v[140:141], -v[104:105]
	global_load_dwordx4 v[140:143], v[158:159], off offset:864
	s_waitcnt vmcnt(0) lgkmcnt(24)
	v_mul_f64 v[104:105], v[102:103], v[142:143]
	v_fma_f64 v[106:107], v[100:101], v[140:141], v[104:105]
	v_mul_f64 v[100:101], v[100:101], v[142:143]
	v_fma_f64 v[110:111], v[102:103], v[140:141], -v[100:101]
	v_mul_lo_u16 v100, 0x89, v181
	v_lshrrev_b16 v184, 13, v100
	v_mul_lo_u16 v100, v184, 60
	v_sub_nc_u16 v185, v180, v100
	v_mov_b32_e32 v180, 0x8889
	v_mul_u32_u24_sdwa v100, v185, v179 dst_sel:DWORD dst_unused:UNUSED_PAD src0_sel:BYTE_0 src1_sel:DWORD
	v_lshlrev_b32_e32 v154, 4, v100
	s_clause 0x3
	global_load_dwordx4 v[102:105], v154, s[12:13] offset:848
	global_load_dwordx4 v[140:143], v154, s[12:13] offset:832
	;; [unrolled: 1-line block ×4, first 2 shown]
	s_waitcnt vmcnt(0) lgkmcnt(22)
	v_mul_f64 v[100:101], v[98:99], v[152:153]
	v_fma_f64 v[100:101], v[96:97], v[150:151], v[100:101]
	v_mul_f64 v[96:97], v[96:97], v[152:153]
	v_fma_f64 v[96:97], v[98:99], v[150:151], -v[96:97]
	s_waitcnt lgkmcnt(21)
	v_mul_f64 v[98:99], v[94:95], v[146:147]
	v_fma_f64 v[98:99], v[92:93], v[144:145], v[98:99]
	v_mul_f64 v[92:93], v[92:93], v[146:147]
	v_fma_f64 v[94:95], v[94:95], v[144:145], -v[92:93]
	s_waitcnt lgkmcnt(20)
	;; [unrolled: 5-line block ×3, first 2 shown]
	v_mul_f64 v[90:91], v[86:87], v[104:105]
	v_fma_f64 v[90:91], v[84:85], v[102:103], v[90:91]
	v_mul_f64 v[84:85], v[84:85], v[104:105]
	v_fma_f64 v[102:103], v[86:87], v[102:103], -v[84:85]
	global_load_dwordx4 v[84:87], v154, s[12:13] offset:864
	s_waitcnt vmcnt(0) lgkmcnt(18)
	v_mul_f64 v[104:105], v[82:83], v[86:87]
	v_fma_f64 v[104:105], v[80:81], v[84:85], v[104:105]
	v_mul_f64 v[80:81], v[80:81], v[86:87]
	v_fma_f64 v[80:81], v[82:83], v[84:85], -v[80:81]
	v_mul_u32_u24_sdwa v82, v177, v180 dst_sel:DWORD dst_unused:UNUSED_PAD src0_sel:WORD_0 src1_sel:DWORD
	v_lshrrev_b32_e32 v182, 21, v82
	v_mul_lo_u16 v82, v182, 60
	v_sub_nc_u16 v183, v177, v82
	v_mul_u32_u24_sdwa v82, v183, v179 dst_sel:DWORD dst_unused:UNUSED_PAD src0_sel:WORD_0 src1_sel:DWORD
	v_lshlrev_b32_e32 v164, 4, v82
	s_clause 0x3
	global_load_dwordx4 v[82:85], v164, s[12:13] offset:848
	global_load_dwordx4 v[152:155], v164, s[12:13] offset:832
	;; [unrolled: 1-line block ×4, first 2 shown]
	s_waitcnt vmcnt(0) lgkmcnt(16)
	v_mul_f64 v[86:87], v[78:79], v[146:147]
	v_fma_f64 v[142:143], v[76:77], v[144:145], v[86:87]
	v_mul_f64 v[76:77], v[76:77], v[146:147]
	v_fma_f64 v[140:141], v[78:79], v[144:145], -v[76:77]
	s_waitcnt lgkmcnt(15)
	v_mul_f64 v[76:77], v[74:75], v[160:161]
	v_fma_f64 v[146:147], v[72:73], v[158:159], v[76:77]
	v_mul_f64 v[72:73], v[72:73], v[160:161]
	v_fma_f64 v[150:151], v[74:75], v[158:159], -v[72:73]
	s_waitcnt lgkmcnt(14)
	v_mul_f64 v[72:73], v[70:71], v[154:155]
	v_fma_f64 v[144:145], v[68:69], v[152:153], v[72:73]
	global_load_dwordx4 v[72:75], v164, s[12:13] offset:864
	v_mul_f64 v[68:69], v[68:69], v[154:155]
	v_fma_f64 v[68:69], v[70:71], v[152:153], -v[68:69]
	s_waitcnt lgkmcnt(13)
	v_mul_f64 v[70:71], v[66:67], v[84:85]
	v_fma_f64 v[70:71], v[64:65], v[82:83], v[70:71]
	v_mul_f64 v[64:65], v[64:65], v[84:85]
	v_fma_f64 v[66:67], v[66:67], v[82:83], -v[64:65]
	s_waitcnt vmcnt(0) lgkmcnt(12)
	v_mul_f64 v[64:65], v[62:63], v[74:75]
	v_fma_f64 v[64:65], v[60:61], v[72:73], v[64:65]
	v_mul_f64 v[60:61], v[60:61], v[74:75]
	v_fma_f64 v[60:61], v[62:63], v[72:73], -v[60:61]
	v_mul_u32_u24_sdwa v62, v172, v180 dst_sel:DWORD dst_unused:UNUSED_PAD src0_sel:WORD_0 src1_sel:DWORD
	v_lshrrev_b32_e32 v177, 21, v62
	v_mul_lo_u16 v62, v177, 60
	v_sub_nc_u16 v181, v172, v62
	v_mul_u32_u24_sdwa v62, v181, v179 dst_sel:DWORD dst_unused:UNUSED_PAD src0_sel:WORD_0 src1_sel:DWORD
	v_lshlrev_b32_e32 v86, 4, v62
	s_clause 0x3
	global_load_dwordx4 v[72:75], v86, s[12:13] offset:848
	global_load_dwordx4 v[76:79], v86, s[12:13] offset:832
	;; [unrolled: 1-line block ×4, first 2 shown]
	s_waitcnt vmcnt(0) lgkmcnt(10)
	v_mul_f64 v[62:63], v[58:59], v[160:161]
	v_fma_f64 v[154:155], v[56:57], v[158:159], v[62:63]
	v_mul_f64 v[56:57], v[56:57], v[160:161]
	v_fma_f64 v[152:153], v[58:59], v[158:159], -v[56:57]
	s_waitcnt lgkmcnt(9)
	v_mul_f64 v[56:57], v[54:55], v[84:85]
	v_fma_f64 v[160:161], v[52:53], v[82:83], v[56:57]
	v_mul_f64 v[52:53], v[52:53], v[84:85]
	v_fma_f64 v[166:167], v[54:55], v[82:83], -v[52:53]
	s_waitcnt lgkmcnt(8)
	;; [unrolled: 5-line block ×3, first 2 shown]
	v_mul_f64 v[48:49], v[46:47], v[74:75]
	v_fma_f64 v[168:169], v[44:45], v[72:73], v[48:49]
	v_mul_f64 v[44:45], v[44:45], v[74:75]
	v_fma_f64 v[44:45], v[46:47], v[72:73], -v[44:45]
	global_load_dwordx4 v[46:49], v86, s[12:13] offset:864
	s_waitcnt vmcnt(0) lgkmcnt(6)
	v_mul_f64 v[50:51], v[42:43], v[48:49]
	v_fma_f64 v[187:188], v[40:41], v[46:47], v[50:51]
	v_mul_f64 v[40:41], v[40:41], v[48:49]
	v_fma_f64 v[189:190], v[42:43], v[46:47], -v[40:41]
	v_mul_u32_u24_sdwa v40, v139, v180 dst_sel:DWORD dst_unused:UNUSED_PAD src0_sel:WORD_0 src1_sel:DWORD
	v_lshrrev_b32_e32 v180, 21, v40
	v_mul_lo_u16 v40, v180, 60
	v_sub_nc_u16 v139, v139, v40
	v_mul_u32_u24_sdwa v40, v139, v179 dst_sel:DWORD dst_unused:UNUSED_PAD src0_sel:WORD_0 src1_sel:DWORD
	v_lshlrev_b32_e32 v62, 4, v40
	s_clause 0x3
	global_load_dwordx4 v[40:43], v62, s[12:13] offset:848
	global_load_dwordx4 v[46:49], v62, s[12:13] offset:832
	global_load_dwordx4 v[50:53], v62, s[12:13] offset:816
	global_load_dwordx4 v[54:57], v62, s[12:13] offset:800
	s_waitcnt vmcnt(0) lgkmcnt(4)
	v_mul_f64 v[58:59], v[38:39], v[56:57]
	v_fma_f64 v[191:192], v[36:37], v[54:55], v[58:59]
	v_mul_f64 v[36:37], v[36:37], v[56:57]
	v_fma_f64 v[193:194], v[38:39], v[54:55], -v[36:37]
	s_waitcnt lgkmcnt(3)
	v_mul_f64 v[36:37], v[34:35], v[52:53]
	v_add_f64 v[38:39], v[108:109], v[110:111]
	v_fma_f64 v[195:196], v[32:33], v[50:51], v[36:37]
	v_mul_f64 v[32:33], v[32:33], v[52:53]
	v_fma_f64 v[38:39], v[38:39], -0.5, v[116:117]
	v_fma_f64 v[197:198], v[34:35], v[50:51], -v[32:33]
	s_waitcnt lgkmcnt(2)
	v_mul_f64 v[32:33], v[30:31], v[48:49]
	v_add_f64 v[34:35], v[108:109], -v[110:111]
	v_fma_f64 v[199:200], v[28:29], v[46:47], v[32:33]
	v_mul_f64 v[28:29], v[28:29], v[48:49]
	v_add_f64 v[32:33], v[112:113], v[106:107]
	v_fma_f64 v[201:202], v[30:31], v[46:47], -v[28:29]
	s_waitcnt lgkmcnt(1)
	v_mul_f64 v[28:29], v[26:27], v[42:43]
	v_fma_f64 v[32:33], v[32:33], -0.5, v[148:149]
	v_fma_f64 v[203:204], v[24:25], v[40:41], v[28:29]
	v_mul_f64 v[24:25], v[24:25], v[42:43]
	v_fma_f64 v[36:37], v[34:35], s[6:7], v[32:33]
	v_fma_f64 v[32:33], v[34:35], s[4:5], v[32:33]
	v_add_f64 v[34:35], v[116:117], v[108:109]
	v_fma_f64 v[205:206], v[26:27], v[40:41], -v[24:25]
	global_load_dwordx4 v[24:27], v62, s[12:13] offset:864
	v_add_f64 v[40:41], v[112:113], -v[106:107]
	v_add_f64 v[34:35], v[34:35], v[110:111]
	s_waitcnt vmcnt(0) lgkmcnt(0)
	s_barrier
	buffer_gl0_inv
	v_fma_f64 v[42:43], v[40:41], s[4:5], v[38:39]
	v_fma_f64 v[38:39], v[40:41], s[6:7], v[38:39]
	v_mul_f64 v[40:41], v[42:43], s[6:7]
	v_mul_f64 v[46:47], v[38:39], s[6:7]
	v_mul_f64 v[38:39], v[38:39], -0.5
	v_mul_f64 v[42:43], v[42:43], 0.5
	v_fma_f64 v[40:41], v[36:37], 0.5, v[40:41]
	v_fma_f64 v[46:47], v[32:33], -0.5, v[46:47]
	v_fma_f64 v[32:33], v[32:33], s[4:5], v[38:39]
	v_fma_f64 v[36:37], v[36:37], s[4:5], v[42:43]
	v_mul_f64 v[28:29], v[22:23], v[26:27]
	v_fma_f64 v[207:208], v[20:21], v[24:25], v[28:29]
	v_mul_f64 v[20:21], v[20:21], v[26:27]
	v_add_f64 v[28:29], v[114:115], v[162:163]
	v_fma_f64 v[20:21], v[22:23], v[24:25], -v[20:21]
	v_add_f64 v[24:25], v[118:119], v[156:157]
	v_add_f64 v[22:23], v[16:17], v[118:119]
	v_fma_f64 v[16:17], v[24:25], -0.5, v[16:17]
	v_add_f64 v[24:25], v[114:115], -v[162:163]
	v_add_f64 v[22:23], v[22:23], v[156:157]
	v_fma_f64 v[26:27], v[24:25], s[6:7], v[16:17]
	v_fma_f64 v[16:17], v[24:25], s[4:5], v[16:17]
	v_add_f64 v[24:25], v[18:19], v[114:115]
	v_fma_f64 v[18:19], v[28:29], -0.5, v[18:19]
	v_add_f64 v[28:29], v[118:119], -v[156:157]
	v_add_f64 v[76:77], v[26:27], v[40:41]
	v_add_f64 v[84:85], v[16:17], v[46:47]
	;; [unrolled: 1-line block ×3, first 2 shown]
	v_add_f64 v[108:109], v[16:17], -v[46:47]
	v_fma_f64 v[30:31], v[28:29], s[4:5], v[18:19]
	v_fma_f64 v[18:19], v[28:29], s[6:7], v[18:19]
	v_add_f64 v[28:29], v[148:149], v[112:113]
	v_add_f64 v[16:17], v[12:13], v[98:99]
	v_add_f64 v[112:113], v[26:27], -v[40:41]
	v_add_f64 v[74:75], v[24:25], v[34:35]
	v_add_f64 v[118:119], v[24:25], -v[34:35]
	v_add_f64 v[34:35], v[88:89], v[80:81]
	v_add_f64 v[86:87], v[18:19], v[32:33]
	;; [unrolled: 1-line block ×3, first 2 shown]
	v_add_f64 v[110:111], v[18:19], -v[32:33]
	v_add_f64 v[18:19], v[98:99], v[90:91]
	v_add_f64 v[78:79], v[30:31], v[36:37]
	v_add_f64 v[114:115], v[30:31], -v[36:37]
	v_add_f64 v[24:25], v[94:95], v[102:103]
	v_add_f64 v[30:31], v[88:89], -v[80:81]
	v_add_f64 v[36:37], v[92:93], -v[104:105]
	v_add_f64 v[16:17], v[16:17], v[90:91]
	v_fma_f64 v[34:35], v[34:35], -0.5, v[96:97]
	v_add_f64 v[72:73], v[22:23], v[28:29]
	v_add_f64 v[116:117], v[22:23], -v[28:29]
	v_add_f64 v[28:29], v[92:93], v[104:105]
	v_fma_f64 v[12:13], v[18:19], -0.5, v[12:13]
	v_add_f64 v[18:19], v[94:95], -v[102:103]
	v_fma_f64 v[38:39], v[36:37], s[4:5], v[34:35]
	v_fma_f64 v[34:35], v[36:37], s[6:7], v[34:35]
	v_fma_f64 v[28:29], v[28:29], -0.5, v[100:101]
	v_fma_f64 v[22:23], v[18:19], s[6:7], v[12:13]
	v_fma_f64 v[12:13], v[18:19], s[4:5], v[12:13]
	v_add_f64 v[18:19], v[14:15], v[94:95]
	v_fma_f64 v[14:15], v[24:25], -0.5, v[14:15]
	v_add_f64 v[24:25], v[98:99], -v[90:91]
	v_mul_f64 v[36:37], v[38:39], s[6:7]
	v_mul_f64 v[40:41], v[34:35], s[6:7]
	v_mul_f64 v[38:39], v[38:39], 0.5
	v_mul_f64 v[34:35], v[34:35], -0.5
	v_fma_f64 v[32:33], v[30:31], s[6:7], v[28:29]
	v_fma_f64 v[28:29], v[30:31], s[4:5], v[28:29]
	v_add_f64 v[30:31], v[96:97], v[88:89]
	v_add_f64 v[18:19], v[18:19], v[102:103]
	v_fma_f64 v[26:27], v[24:25], s[4:5], v[14:15]
	v_fma_f64 v[14:15], v[24:25], s[6:7], v[14:15]
	v_add_f64 v[24:25], v[100:101], v[92:93]
	v_fma_f64 v[36:37], v[32:33], 0.5, v[36:37]
	v_fma_f64 v[40:41], v[28:29], -0.5, v[40:41]
	v_add_f64 v[30:31], v[30:31], v[80:81]
	v_fma_f64 v[32:33], v[32:33], s[4:5], v[38:39]
	v_fma_f64 v[28:29], v[28:29], s[4:5], v[34:35]
	v_add_f64 v[24:25], v[24:25], v[104:105]
	v_add_f64 v[96:97], v[22:23], v[36:37]
	;; [unrolled: 1-line block ×4, first 2 shown]
	v_add_f64 v[102:103], v[18:19], -v[30:31]
	v_add_f64 v[30:31], v[68:69], v[60:61]
	v_add_f64 v[98:99], v[26:27], v[32:33]
	;; [unrolled: 1-line block ×3, first 2 shown]
	v_add_f64 v[90:91], v[26:27], -v[32:33]
	v_add_f64 v[104:105], v[16:17], v[24:25]
	v_add_f64 v[100:101], v[16:17], -v[24:25]
	v_add_f64 v[82:83], v[14:15], -v[28:29]
	v_add_f64 v[14:15], v[146:147], v[70:71]
	v_add_f64 v[24:25], v[144:145], v[64:65]
	v_add_f64 v[32:33], v[144:145], -v[64:65]
	v_add_f64 v[80:81], v[12:13], -v[40:41]
	v_add_f64 v[12:13], v[8:9], v[146:147]
	v_add_f64 v[18:19], v[150:151], v[66:67]
	v_add_f64 v[26:27], v[68:69], -v[60:61]
	v_add_f64 v[88:89], v[22:23], -v[36:37]
	v_fma_f64 v[30:31], v[30:31], -0.5, v[140:141]
	v_fma_f64 v[8:9], v[14:15], -0.5, v[8:9]
	v_add_f64 v[14:15], v[150:151], -v[66:67]
	v_fma_f64 v[24:25], v[24:25], -0.5, v[142:143]
	v_add_f64 v[12:13], v[12:13], v[70:71]
	v_fma_f64 v[34:35], v[32:33], s[4:5], v[30:31]
	v_fma_f64 v[30:31], v[32:33], s[6:7], v[30:31]
	;; [unrolled: 1-line block ×4, first 2 shown]
	v_add_f64 v[14:15], v[10:11], v[150:151]
	v_fma_f64 v[10:11], v[18:19], -0.5, v[10:11]
	v_add_f64 v[18:19], v[146:147], -v[70:71]
	v_fma_f64 v[28:29], v[26:27], s[6:7], v[24:25]
	v_fma_f64 v[24:25], v[26:27], s[4:5], v[24:25]
	v_add_f64 v[26:27], v[140:141], v[68:69]
	v_mul_f64 v[32:33], v[34:35], s[6:7]
	v_mul_f64 v[36:37], v[30:31], s[6:7]
	v_mul_f64 v[30:31], v[30:31], -0.5
	v_mul_f64 v[34:35], v[34:35], 0.5
	v_add_f64 v[14:15], v[14:15], v[66:67]
	v_fma_f64 v[22:23], v[18:19], s[4:5], v[10:11]
	v_fma_f64 v[10:11], v[18:19], s[6:7], v[10:11]
	v_add_f64 v[18:19], v[142:143], v[144:145]
	v_add_f64 v[26:27], v[26:27], v[60:61]
	v_fma_f64 v[32:33], v[28:29], 0.5, v[32:33]
	v_fma_f64 v[36:37], v[24:25], -0.5, v[36:37]
	v_fma_f64 v[24:25], v[24:25], s[4:5], v[30:31]
	v_fma_f64 v[28:29], v[28:29], s[4:5], v[34:35]
	v_add_f64 v[18:19], v[18:19], v[64:65]
	v_add_f64 v[70:71], v[14:15], v[26:27]
	v_add_f64 v[66:67], v[14:15], -v[26:27]
	v_add_f64 v[14:15], v[166:167], v[44:45]
	v_add_f64 v[60:61], v[16:17], v[32:33]
	;; [unrolled: 1-line block ×4, first 2 shown]
	v_add_f64 v[50:51], v[10:11], -v[24:25]
	v_add_f64 v[24:25], v[164:165], v[189:190]
	v_add_f64 v[62:63], v[22:23], v[28:29]
	v_add_f64 v[54:55], v[22:23], -v[28:29]
	v_add_f64 v[28:29], v[158:159], -v[187:188]
	;; [unrolled: 1-line block ×4, first 2 shown]
	v_add_f64 v[10:11], v[160:161], v[168:169]
	v_add_f64 v[8:9], v[4:5], v[160:161]
	v_add_f64 v[52:53], v[16:17], -v[32:33]
	v_add_f64 v[68:69], v[12:13], v[18:19]
	v_add_f64 v[64:65], v[12:13], -v[18:19]
	v_add_f64 v[18:19], v[158:159], v[187:188]
	v_fma_f64 v[24:25], v[24:25], -0.5, v[152:153]
	v_fma_f64 v[4:5], v[10:11], -0.5, v[4:5]
	v_add_f64 v[10:11], v[166:167], -v[44:45]
	v_add_f64 v[8:9], v[8:9], v[168:169]
	v_fma_f64 v[18:19], v[18:19], -0.5, v[154:155]
	v_fma_f64 v[30:31], v[28:29], s[4:5], v[24:25]
	v_fma_f64 v[36:37], v[28:29], s[6:7], v[24:25]
	;; [unrolled: 1-line block ×4, first 2 shown]
	v_add_f64 v[10:11], v[6:7], v[166:167]
	v_fma_f64 v[6:7], v[14:15], -0.5, v[6:7]
	v_add_f64 v[14:15], v[160:161], -v[168:169]
	v_fma_f64 v[26:27], v[22:23], s[6:7], v[18:19]
	v_fma_f64 v[18:19], v[22:23], s[4:5], v[18:19]
	v_add_f64 v[22:23], v[152:153], v[164:165]
	v_mul_f64 v[24:25], v[30:31], s[6:7]
	v_mul_f64 v[30:31], v[30:31], 0.5
	v_add_f64 v[10:11], v[10:11], v[44:45]
	v_fma_f64 v[16:17], v[14:15], s[4:5], v[6:7]
	v_fma_f64 v[6:7], v[14:15], s[6:7], v[6:7]
	v_add_f64 v[14:15], v[154:155], v[158:159]
	v_add_f64 v[22:23], v[22:23], v[189:190]
	v_fma_f64 v[38:39], v[26:27], 0.5, v[24:25]
	v_mul_f64 v[24:25], v[36:37], s[6:7]
	v_fma_f64 v[140:141], v[26:27], s[4:5], v[30:31]
	v_mul_f64 v[26:27], v[36:37], -0.5
	v_add_f64 v[14:15], v[14:15], v[187:188]
	v_add_f64 v[34:35], v[10:11], v[22:23]
	v_add_f64 v[46:47], v[10:11], -v[22:23]
	v_add_f64 v[28:29], v[12:13], v[38:39]
	v_fma_f64 v[42:43], v[18:19], -0.5, v[24:25]
	v_add_f64 v[40:41], v[12:13], -v[38:39]
	v_fma_f64 v[18:19], v[18:19], s[4:5], v[26:27]
	v_add_f64 v[30:31], v[16:17], v[140:141]
	v_add_f64 v[32:33], v[8:9], v[14:15]
	v_add_f64 v[44:45], v[8:9], -v[14:15]
	v_add_f64 v[24:25], v[4:5], v[42:43]
	v_add_f64 v[36:37], v[4:5], -v[42:43]
	v_add_f64 v[4:5], v[0:1], v[195:196]
	v_add_f64 v[26:27], v[6:7], v[18:19]
	v_add_f64 v[38:39], v[6:7], -v[18:19]
	v_add_f64 v[42:43], v[16:17], -v[140:141]
	v_add_f64 v[12:13], v[4:5], v[203:204]
	v_add_f64 v[4:5], v[195:196], v[203:204]
	v_fma_f64 v[0:1], v[4:5], -0.5, v[0:1]
	v_add_f64 v[4:5], v[197:198], -v[205:206]
	v_fma_f64 v[14:15], v[4:5], s[6:7], v[0:1]
	v_fma_f64 v[18:19], v[4:5], s[4:5], v[0:1]
	v_add_f64 v[0:1], v[2:3], v[197:198]
	v_add_f64 v[22:23], v[0:1], v[205:206]
	v_add_f64 v[0:1], v[197:198], v[205:206]
	v_fma_f64 v[0:1], v[0:1], -0.5, v[2:3]
	v_add_f64 v[2:3], v[195:196], -v[203:204]
	v_fma_f64 v[140:141], v[2:3], s[4:5], v[0:1]
	v_fma_f64 v[142:143], v[2:3], s[6:7], v[0:1]
	v_add_f64 v[0:1], v[191:192], v[199:200]
	v_add_f64 v[2:3], v[201:202], -v[20:21]
	v_add_f64 v[16:17], v[0:1], v[207:208]
	v_add_f64 v[0:1], v[199:200], v[207:208]
	v_fma_f64 v[0:1], v[0:1], -0.5, v[191:192]
	v_fma_f64 v[6:7], v[2:3], s[6:7], v[0:1]
	v_fma_f64 v[10:11], v[2:3], s[4:5], v[0:1]
	v_add_f64 v[0:1], v[193:194], v[201:202]
	v_add_f64 v[2:3], v[199:200], -v[207:208]
	v_add_f64 v[144:145], v[0:1], v[20:21]
	v_add_f64 v[0:1], v[201:202], v[20:21]
	v_fma_f64 v[0:1], v[0:1], -0.5, v[193:194]
	v_fma_f64 v[20:21], v[2:3], s[4:5], v[0:1]
	v_fma_f64 v[146:147], v[2:3], s[6:7], v[0:1]
	v_add_f64 v[0:1], v[12:13], v[16:17]
	v_mul_f64 v[2:3], v[20:21], s[6:7]
	v_mul_f64 v[20:21], v[20:21], 0.5
	v_fma_f64 v[148:149], v[6:7], 0.5, v[2:3]
	v_mul_f64 v[2:3], v[146:147], s[6:7]
	v_fma_f64 v[152:153], v[6:7], s[4:5], v[20:21]
	v_mul_f64 v[20:21], v[146:147], -0.5
	v_add_f64 v[4:5], v[14:15], v[148:149]
	v_fma_f64 v[150:151], v[10:11], -0.5, v[2:3]
	v_add_f64 v[6:7], v[140:141], v[152:153]
	v_fma_f64 v[146:147], v[10:11], s[4:5], v[20:21]
	v_add_f64 v[20:21], v[12:13], -v[16:17]
	v_add_f64 v[2:3], v[22:23], v[144:145]
	v_add_f64 v[22:23], v[22:23], -v[144:145]
	v_add_f64 v[16:17], v[14:15], -v[148:149]
	v_add_f64 v[8:9], v[18:19], v[150:151]
	v_add_f64 v[12:13], v[18:19], -v[150:151]
	v_add_f64 v[18:19], v[140:141], -v[152:153]
	v_cndmask_b32_e64 v140, 0, 0x1680, s0
	v_lshlrev_b32_e32 v141, 4, v186
	v_add_f64 v[10:11], v[142:143], v[146:147]
	v_add_f64 v[14:15], v[142:143], -v[146:147]
	v_add3_u32 v140, 0, v140, v141
	ds_write_b128 v140, v[72:75]
	ds_write_b128 v140, v[76:79] offset:960
	ds_write_b128 v140, v[84:87] offset:1920
	;; [unrolled: 1-line block ×5, first 2 shown]
	v_mov_b32_e32 v72, 0x1680
	v_lshlrev_b32_sdwa v73, v178, v185 dst_sel:DWORD dst_unused:UNUSED_PAD src0_sel:DWORD src1_sel:BYTE_0
	v_add_co_u32 v141, s0, s12, v132
	v_add_co_ci_u32_e64 v142, s0, s13, v133, s0
	v_mul_u32_u24_sdwa v72, v184, v72 dst_sel:DWORD dst_unused:UNUSED_PAD src0_sel:WORD_0 src1_sel:DWORD
	v_add_co_u32 v108, s0, 0x1000, v141
	v_add_co_ci_u32_e64 v109, s0, 0, v142, s0
	v_add3_u32 v72, 0, v72, v73
	ds_write_b128 v72, v[104:107]
	ds_write_b128 v72, v[96:99] offset:960
	ds_write_b128 v72, v[92:95] offset:1920
	ds_write_b128 v72, v[100:103] offset:2880
	ds_write_b128 v72, v[88:91] offset:3840
	ds_write_b128 v72, v[80:83] offset:4800
	v_mul_u32_u24_e32 v72, 0x1680, v182
	v_lshlrev_b32_sdwa v73, v178, v183 dst_sel:DWORD dst_unused:UNUSED_PAD src0_sel:DWORD src1_sel:WORD_0
	v_add3_u32 v72, 0, v72, v73
	ds_write_b128 v72, v[68:71]
	ds_write_b128 v72, v[60:63] offset:960
	ds_write_b128 v72, v[56:59] offset:1920
	ds_write_b128 v72, v[64:67] offset:2880
	ds_write_b128 v72, v[52:55] offset:3840
	ds_write_b128 v72, v[48:51] offset:4800
	v_mul_u32_u24_e32 v48, 0x1680, v177
	v_lshlrev_b32_sdwa v49, v178, v181 dst_sel:DWORD dst_unused:UNUSED_PAD src0_sel:DWORD src1_sel:WORD_0
	v_add3_u32 v48, 0, v48, v49
	ds_write_b128 v48, v[32:35]
	ds_write_b128 v48, v[28:31] offset:960
	ds_write_b128 v48, v[24:27] offset:1920
	ds_write_b128 v48, v[44:47] offset:2880
	ds_write_b128 v48, v[40:43] offset:3840
	ds_write_b128 v48, v[36:39] offset:4800
	v_mul_u32_u24_e32 v24, 0x1680, v180
	v_lshlrev_b32_sdwa v25, v178, v139 dst_sel:DWORD dst_unused:UNUSED_PAD src0_sel:DWORD src1_sel:WORD_0
	v_add_co_u32 v139, s0, s12, v134
	v_add_co_ci_u32_e64 v140, s0, s13, v135, s0
	v_add3_u32 v24, 0, v24, v25
	ds_write_b128 v24, v[0:3]
	ds_write_b128 v24, v[4:7] offset:960
	ds_write_b128 v24, v[8:11] offset:1920
	;; [unrolled: 1-line block ×5, first 2 shown]
	s_waitcnt lgkmcnt(0)
	s_barrier
	buffer_gl0_inv
	ds_read_b128 v[56:59], v170
	ds_read_b128 v[104:107], v170 offset:23040
	ds_read_b128 v[52:55], v170 offset:1536
	;; [unrolled: 1-line block ×29, first 2 shown]
	global_load_dwordx4 v[110:113], v[108:109], off offset:1504
	v_add_co_u32 v151, s0, 0x1800, v139
	v_add_co_ci_u32_e64 v152, s0, 0, v140, s0
	v_add_co_u32 v153, s0, 0x2000, v139
	v_add_co_ci_u32_e64 v154, s0, 0, v140, s0
	global_load_dwordx4 v[132:135], v[151:152], off offset:992
	v_cmp_gt_u32_e64 s0, 0x48, v120
	s_waitcnt vmcnt(1) lgkmcnt(28)
	v_mul_f64 v[108:109], v[106:107], v[112:113]
	v_fma_f64 v[108:109], v[104:105], v[110:111], v[108:109]
	v_mul_f64 v[104:105], v[104:105], v[112:113]
	v_fma_f64 v[106:107], v[106:107], v[110:111], -v[104:105]
	s_waitcnt vmcnt(0) lgkmcnt(26)
	v_mul_f64 v[104:105], v[116:117], v[134:135]
	v_fma_f64 v[112:113], v[114:115], v[132:133], v[104:105]
	v_mul_f64 v[104:105], v[114:115], v[134:135]
	v_fma_f64 v[110:111], v[116:117], v[132:133], -v[104:105]
	global_load_dwordx4 v[114:117], v[153:154], off offset:480
	s_waitcnt vmcnt(0) lgkmcnt(24)
	v_mul_f64 v[104:105], v[145:146], v[116:117]
	v_fma_f64 v[118:119], v[143:144], v[114:115], v[104:105]
	v_mul_f64 v[104:105], v[143:144], v[116:117]
	v_fma_f64 v[116:117], v[145:146], v[114:115], -v[104:105]
	v_add_nc_u32_e32 v104, 0xffffffb8, v120
	v_mov_b32_e32 v105, v121
	v_cndmask_b32_e64 v104, v104, v172, s0
	v_lshlrev_b64 v[114:115], 4, v[104:105]
	v_add_co_u32 v105, s0, s12, v114
	v_add_co_ci_u32_e64 v115, s0, s13, v115, s0
	v_add_co_u32 v114, s0, 0x1000, v105
	v_add_co_ci_u32_e64 v115, s0, 0, v115, s0
	global_load_dwordx4 v[143:146], v[114:115], off offset:1504
	s_waitcnt vmcnt(0) lgkmcnt(22)
	v_mul_f64 v[114:115], v[149:150], v[145:146]
	v_fma_f64 v[134:135], v[147:148], v[143:144], v[114:115]
	v_mul_f64 v[114:115], v[147:148], v[145:146]
	v_fma_f64 v[132:133], v[149:150], v[143:144], -v[114:115]
	v_add_co_u32 v114, s0, 0x1000, v139
	v_add_co_ci_u32_e64 v115, s0, 0, v140, s0
	global_load_dwordx4 v[143:146], v[114:115], off offset:1888
	s_waitcnt vmcnt(0) lgkmcnt(20)
	v_mul_f64 v[114:115], v[102:103], v[145:146]
	v_fma_f64 v[114:115], v[100:101], v[143:144], v[114:115]
	v_mul_f64 v[100:101], v[100:101], v[145:146]
	v_fma_f64 v[100:101], v[102:103], v[143:144], -v[100:101]
	global_load_dwordx4 v[143:146], v[151:152], off offset:1376
	v_add_f64 v[100:101], v[42:43], -v[100:101]
	v_fma_f64 v[42:43], v[42:43], 2.0, -v[100:101]
	s_waitcnt vmcnt(0) lgkmcnt(18)
	v_mul_f64 v[102:103], v[98:99], v[145:146]
	v_fma_f64 v[102:103], v[96:97], v[143:144], v[102:103]
	v_mul_f64 v[96:97], v[96:97], v[145:146]
	v_fma_f64 v[96:97], v[98:99], v[143:144], -v[96:97]
	global_load_dwordx4 v[143:146], v[153:154], off offset:864
	v_add_f64 v[96:97], v[38:39], -v[96:97]
	s_waitcnt vmcnt(0) lgkmcnt(16)
	v_mul_f64 v[98:99], v[94:95], v[145:146]
	v_fma_f64 v[147:148], v[92:93], v[143:144], v[98:99]
	v_mul_f64 v[92:93], v[92:93], v[145:146]
	v_mov_b32_e32 v98, 0x2d83
	v_fma_f64 v[149:150], v[94:95], v[143:144], -v[92:93]
	v_mul_u32_u24_sdwa v92, v171, v98 dst_sel:DWORD dst_unused:UNUSED_PAD src0_sel:WORD_0 src1_sel:DWORD
	v_lshrrev_b32_e32 v92, 22, v92
	v_mul_lo_u16 v93, 0x168, v92
	v_sub_nc_u16 v93, v171, v93
	v_lshlrev_b32_sdwa v93, v178, v93 dst_sel:DWORD dst_unused:UNUSED_PAD src0_sel:DWORD src1_sel:WORD_0
	v_add_co_u32 v94, s0, s12, v93
	v_add_co_ci_u32_e64 v95, null, s13, 0, s0
	v_add_co_u32 v94, s0, 0x1000, v94
	v_add_co_ci_u32_e64 v95, s0, 0, v95, s0
	global_load_dwordx4 v[143:146], v[94:95], off offset:1504
	s_waitcnt vmcnt(0) lgkmcnt(14)
	v_mul_f64 v[94:95], v[90:91], v[145:146]
	v_fma_f64 v[151:152], v[88:89], v[143:144], v[94:95]
	v_mul_f64 v[88:89], v[88:89], v[145:146]
	v_add_f64 v[151:152], v[28:29], -v[151:152]
	v_fma_f64 v[89:90], v[90:91], v[143:144], -v[88:89]
	v_mul_u32_u24_sdwa v88, v136, v98 dst_sel:DWORD dst_unused:UNUSED_PAD src0_sel:WORD_0 src1_sel:DWORD
	v_lshrrev_b32_e32 v88, 22, v88
	v_mul_lo_u16 v88, 0x168, v88
	v_sub_nc_u16 v88, v136, v88
	v_lshlrev_b32_sdwa v88, v178, v88 dst_sel:DWORD dst_unused:UNUSED_PAD src0_sel:DWORD src1_sel:WORD_0
	v_add_f64 v[153:154], v[30:31], -v[89:90]
	v_fma_f64 v[155:156], v[28:29], 2.0, -v[151:152]
	v_add_co_u32 v91, s0, s12, v88
	v_add_co_ci_u32_e64 v95, null, s13, 0, s0
	v_add_co_u32 v94, s0, 0x1000, v91
	v_add_co_ci_u32_e64 v95, s0, 0, v95, s0
	global_load_dwordx4 v[143:146], v[94:95], off offset:1504
	v_fma_f64 v[157:158], v[30:31], 2.0, -v[153:154]
	s_waitcnt vmcnt(0) lgkmcnt(12)
	v_mul_f64 v[94:95], v[86:87], v[145:146]
	v_fma_f64 v[159:160], v[84:85], v[143:144], v[94:95]
	v_mul_f64 v[84:85], v[84:85], v[145:146]
	v_add_f64 v[159:160], v[24:25], -v[159:160]
	v_fma_f64 v[85:86], v[86:87], v[143:144], -v[84:85]
	v_mul_u32_u24_sdwa v84, v173, v98 dst_sel:DWORD dst_unused:UNUSED_PAD src0_sel:WORD_0 src1_sel:DWORD
	v_lshrrev_b32_e32 v84, 22, v84
	v_mul_lo_u16 v84, 0x168, v84
	v_sub_nc_u16 v84, v173, v84
	v_lshlrev_b32_sdwa v84, v178, v84 dst_sel:DWORD dst_unused:UNUSED_PAD src0_sel:DWORD src1_sel:WORD_0
	v_add_f64 v[161:162], v[26:27], -v[85:86]
	v_fma_f64 v[163:164], v[24:25], 2.0, -v[159:160]
	v_add_co_u32 v87, s0, s12, v84
	v_add_co_ci_u32_e64 v91, null, s13, 0, s0
	v_add_co_u32 v94, s0, 0x1000, v87
	v_add_co_ci_u32_e64 v95, s0, 0, v91, s0
	global_load_dwordx4 v[143:146], v[94:95], off offset:1504
	v_fma_f64 v[165:166], v[26:27], 2.0, -v[161:162]
	s_waitcnt vmcnt(0) lgkmcnt(10)
	v_mul_f64 v[94:95], v[82:83], v[145:146]
	v_fma_f64 v[167:168], v[80:81], v[143:144], v[94:95]
	v_mul_f64 v[80:81], v[80:81], v[145:146]
	v_add_f64 v[172:173], v[20:21], -v[167:168]
	v_fma_f64 v[81:82], v[82:83], v[143:144], -v[80:81]
	v_mul_u32_u24_sdwa v80, v174, v98 dst_sel:DWORD dst_unused:UNUSED_PAD src0_sel:WORD_0 src1_sel:DWORD
	v_lshrrev_b32_e32 v80, 22, v80
	v_mul_lo_u16 v80, 0x168, v80
	v_sub_nc_u16 v80, v174, v80
	v_lshlrev_b32_sdwa v80, v178, v80 dst_sel:DWORD dst_unused:UNUSED_PAD src0_sel:DWORD src1_sel:WORD_0
	v_add_co_u32 v83, s0, s12, v80
	v_add_co_ci_u32_e64 v87, null, s13, 0, s0
	v_add_co_u32 v94, s0, 0x1000, v83
	v_add_co_ci_u32_e64 v95, s0, 0, v87, s0
	global_load_dwordx4 v[143:146], v[94:95], off offset:1504
	s_waitcnt vmcnt(0) lgkmcnt(8)
	v_mul_f64 v[94:95], v[78:79], v[145:146]
	v_fma_f64 v[180:181], v[76:77], v[143:144], v[94:95]
	v_mul_f64 v[76:77], v[76:77], v[145:146]
	v_fma_f64 v[78:79], v[78:79], v[143:144], -v[76:77]
	v_mul_u32_u24_sdwa v76, v175, v98 dst_sel:DWORD dst_unused:UNUSED_PAD src0_sel:WORD_0 src1_sel:DWORD
	v_lshrrev_b32_e32 v76, 22, v76
	v_mul_lo_u16 v77, 0x168, v76
	v_sub_nc_u16 v77, v175, v77
	v_add_f64 v[174:175], v[22:23], -v[81:82]
	v_lshlrev_b32_sdwa v77, v178, v77 dst_sel:DWORD dst_unused:UNUSED_PAD src0_sel:DWORD src1_sel:WORD_0
	v_add_co_u32 v83, s0, s12, v77
	v_add_co_ci_u32_e64 v87, null, s13, 0, s0
	v_add_co_u32 v94, s0, 0x1000, v83
	v_add_co_ci_u32_e64 v95, s0, 0, v87, s0
	global_load_dwordx4 v[143:146], v[94:95], off offset:1504
	s_waitcnt vmcnt(0) lgkmcnt(6)
	v_mul_f64 v[94:95], v[74:75], v[145:146]
	v_fma_f64 v[182:183], v[72:73], v[143:144], v[94:95]
	v_mul_f64 v[72:73], v[72:73], v[145:146]
	v_add_f64 v[24:25], v[12:13], -v[182:183]
	v_fma_f64 v[73:74], v[74:75], v[143:144], -v[72:73]
	v_mul_u32_u24_sdwa v72, v137, v98 dst_sel:DWORD dst_unused:UNUSED_PAD src0_sel:WORD_0 src1_sel:DWORD
	v_lshrrev_b32_e32 v72, 22, v72
	v_mul_lo_u16 v72, 0x168, v72
	v_sub_nc_u16 v72, v137, v72
	v_lshlrev_b32_sdwa v72, v178, v72 dst_sel:DWORD dst_unused:UNUSED_PAD src0_sel:DWORD src1_sel:WORD_0
	v_add_f64 v[26:27], v[14:15], -v[73:74]
	v_fma_f64 v[28:29], v[12:13], 2.0, -v[24:25]
	v_add_co_u32 v75, s0, s12, v72
	v_add_co_ci_u32_e64 v83, null, s13, 0, s0
	v_add_co_u32 v94, s0, 0x1000, v75
	v_add_co_ci_u32_e64 v95, s0, 0, v83, s0
	global_load_dwordx4 v[143:146], v[94:95], off offset:1504
	v_fma_f64 v[30:31], v[14:15], 2.0, -v[26:27]
	s_waitcnt vmcnt(0) lgkmcnt(4)
	v_mul_f64 v[94:95], v[70:71], v[145:146]
	v_fma_f64 v[136:137], v[68:69], v[143:144], v[94:95]
	v_mul_f64 v[68:69], v[68:69], v[145:146]
	v_fma_f64 v[69:70], v[70:71], v[143:144], -v[68:69]
	v_mul_u32_u24_sdwa v68, v138, v98 dst_sel:DWORD dst_unused:UNUSED_PAD src0_sel:WORD_0 src1_sel:DWORD
	v_lshrrev_b32_e32 v68, 22, v68
	v_mul_lo_u16 v68, 0x168, v68
	v_sub_nc_u16 v68, v138, v68
	v_lshlrev_b32_sdwa v68, v178, v68 dst_sel:DWORD dst_unused:UNUSED_PAD src0_sel:DWORD src1_sel:WORD_0
	v_add_co_u32 v71, s0, s12, v68
	v_add_co_ci_u32_e64 v75, null, s13, 0, s0
	v_add_co_u32 v94, s0, 0x1000, v71
	v_add_co_ci_u32_e64 v95, s0, 0, v75, s0
	global_load_dwordx4 v[143:146], v[94:95], off offset:1504
	s_waitcnt vmcnt(0) lgkmcnt(2)
	v_mul_f64 v[94:95], v[66:67], v[145:146]
	v_fma_f64 v[184:185], v[64:65], v[143:144], v[94:95]
	v_mul_f64 v[64:65], v[64:65], v[145:146]
	v_fma_f64 v[65:66], v[66:67], v[143:144], -v[64:65]
	v_mul_u32_u24_sdwa v64, v176, v98 dst_sel:DWORD dst_unused:UNUSED_PAD src0_sel:WORD_0 src1_sel:DWORD
	v_add_f64 v[98:99], v[40:41], -v[114:115]
	v_lshrrev_b32_e32 v64, 22, v64
	v_mul_lo_u16 v64, 0x168, v64
	v_sub_nc_u16 v64, v176, v64
	v_fma_f64 v[176:177], v[20:21], 2.0, -v[172:173]
	v_lshlrev_b32_sdwa v64, v178, v64 dst_sel:DWORD dst_unused:UNUSED_PAD src0_sel:DWORD src1_sel:WORD_0
	v_fma_f64 v[178:179], v[22:23], 2.0, -v[174:175]
	v_fma_f64 v[40:41], v[40:41], 2.0, -v[98:99]
	v_add_co_u32 v67, s0, s12, v64
	v_add_co_ci_u32_e64 v71, null, s13, 0, s0
	v_add_co_u32 v94, s0, 0x1000, v67
	v_add_co_ci_u32_e64 v95, s0, 0, v71, s0
	v_cmp_lt_u32_e64 s0, 0x47, v120
	global_load_dwordx4 v[143:146], v[94:95], off offset:1504
	s_waitcnt vmcnt(0) lgkmcnt(0)
	s_barrier
	buffer_gl0_inv
	v_mul_f64 v[94:95], v[62:63], v[145:146]
	v_fma_f64 v[186:187], v[60:61], v[143:144], v[94:95]
	v_mul_f64 v[60:61], v[60:61], v[145:146]
	v_add_f64 v[145:146], v[34:35], -v[149:150]
	v_add_f64 v[94:95], v[36:37], -v[102:103]
	v_fma_f64 v[188:189], v[62:63], v[143:144], -v[60:61]
	v_add_f64 v[143:144], v[32:33], -v[147:148]
	v_fma_f64 v[149:150], v[34:35], 2.0, -v[145:146]
	v_add_f64 v[34:35], v[18:19], -v[78:79]
	v_add_f64 v[60:61], v[56:57], -v[108:109]
	;; [unrolled: 1-line block ×9, first 2 shown]
	v_fma_f64 v[132:133], v[36:37], 2.0, -v[94:95]
	v_fma_f64 v[134:135], v[38:39], 2.0, -v[96:97]
	;; [unrolled: 1-line block ×3, first 2 shown]
	v_add_f64 v[32:33], v[16:17], -v[180:181]
	v_fma_f64 v[38:39], v[18:19], 2.0, -v[34:35]
	v_add_f64 v[18:19], v[10:11], -v[69:70]
	v_fma_f64 v[56:57], v[56:57], 2.0, -v[60:61]
	v_fma_f64 v[58:59], v[58:59], 2.0, -v[62:63]
	;; [unrolled: 1-line block ×8, first 2 shown]
	ds_write_b128 v170, v[56:59]
	ds_write_b128 v170, v[60:63] offset:5760
	ds_write_b128 v170, v[52:55] offset:1536
	;; [unrolled: 1-line block ×5, first 2 shown]
	v_fma_f64 v[36:37], v[16:17], 2.0, -v[32:33]
	v_add_f64 v[16:17], v[8:9], -v[136:137]
	v_fma_f64 v[22:23], v[10:11], 2.0, -v[18:19]
	v_add_f64 v[10:11], v[6:7], -v[65:66]
	v_cndmask_b32_e64 v48, 0, 0x2d00, s0
	v_lshlrev_b32_e32 v49, 4, v104
	v_add_co_u32 v112, s0, 0x2800, v141
	v_add_co_ci_u32_e64 v113, s0, 0, v142, s0
	v_add3_u32 v48, 0, v48, v49
	ds_write_b128 v48, v[44:47]
	ds_write_b128 v48, v[116:119] offset:5760
	ds_write_b128 v170, v[40:43] offset:11904
	;; [unrolled: 1-line block ×7, first 2 shown]
	v_mul_u32_u24_e32 v40, 0x2d00, v92
	v_add_co_u32 v136, s0, 0x3000, v139
	v_add_co_ci_u32_e64 v137, s0, 0, v140, s0
	v_add3_u32 v40, 0, v40, v93
	ds_write_b128 v40, v[155:158]
	ds_write_b128 v40, v[151:154] offset:5760
	v_fma_f64 v[20:21], v[8:9], 2.0, -v[16:17]
	v_add_f64 v[8:9], v[4:5], -v[184:185]
	v_fma_f64 v[14:15], v[6:7], 2.0, -v[10:11]
	v_add_f64 v[6:7], v[2:3], -v[188:189]
	v_add_nc_u32_e32 v40, 0, v88
	ds_write_b128 v40, v[163:166] offset:23040
	ds_write_b128 v40, v[159:162] offset:28800
	v_add_nc_u32_e32 v40, 0, v84
	ds_write_b128 v40, v[176:179] offset:23040
	ds_write_b128 v40, v[172:175] offset:28800
	;; [unrolled: 3-line block ×3, first 2 shown]
	v_mul_u32_u24_e32 v32, 0x2d00, v76
	v_fma_f64 v[12:13], v[4:5], 2.0, -v[8:9]
	v_add_f64 v[4:5], v[0:1], -v[186:187]
	v_fma_f64 v[2:3], v[2:3], 2.0, -v[6:7]
	v_add_co_u32 v147, s0, 0x3800, v139
	v_add3_u32 v32, 0, v32, v77
	ds_write_b128 v32, v[28:31]
	ds_write_b128 v32, v[24:27] offset:5760
	v_add_nc_u32_e32 v24, 0, v72
	ds_write_b128 v24, v[20:23] offset:34560
	ds_write_b128 v24, v[16:19] offset:40320
	v_add_nc_u32_e32 v16, 0, v68
	ds_write_b128 v16, v[12:15] offset:34560
	ds_write_b128 v16, v[8:11] offset:40320
	v_fma_f64 v[0:1], v[0:1], 2.0, -v[4:5]
	v_add_nc_u32_e32 v8, 0, v64
	ds_write_b128 v8, v[0:3] offset:34560
	ds_write_b128 v8, v[4:7] offset:40320
	s_waitcnt lgkmcnt(0)
	s_barrier
	buffer_gl0_inv
	ds_read_b128 v[56:59], v170
	ds_read_b128 v[116:119], v170 offset:23040
	ds_read_b128 v[52:55], v170 offset:1536
	ds_read_b128 v[132:135], v170 offset:24576
	ds_read_b128 v[48:51], v170 offset:3072
	ds_read_b128 v[108:111], v170 offset:26112
	ds_read_b128 v[44:47], v170 offset:4608
	ds_read_b128 v[104:107], v170 offset:27648
	ds_read_b128 v[40:43], v170 offset:6144
	ds_read_b128 v[100:103], v170 offset:29184
	ds_read_b128 v[36:39], v170 offset:7680
	ds_read_b128 v[96:99], v170 offset:30720
	ds_read_b128 v[32:35], v170 offset:9216
	ds_read_b128 v[92:95], v170 offset:32256
	ds_read_b128 v[28:31], v170 offset:10752
	ds_read_b128 v[88:91], v170 offset:33792
	ds_read_b128 v[24:27], v170 offset:12288
	ds_read_b128 v[84:87], v170 offset:35328
	ds_read_b128 v[20:23], v170 offset:13824
	ds_read_b128 v[80:83], v170 offset:36864
	ds_read_b128 v[16:19], v170 offset:15360
	ds_read_b128 v[76:79], v170 offset:38400
	ds_read_b128 v[12:15], v170 offset:16896
	ds_read_b128 v[72:75], v170 offset:39936
	ds_read_b128 v[8:11], v170 offset:18432
	ds_read_b128 v[68:71], v170 offset:41472
	ds_read_b128 v[4:7], v170 offset:19968
	ds_read_b128 v[64:67], v170 offset:43008
	ds_read_b128 v[0:3], v170 offset:21504
	ds_read_b128 v[60:63], v170 offset:44544
	global_load_dwordx4 v[143:146], v[112:113], off offset:1120
	v_add_co_ci_u32_e64 v148, s0, 0, v140, s0
	v_add_co_u32 v130, s0, s12, v130
	v_add_co_ci_u32_e64 v131, s0, s13, v131, s0
	s_waitcnt vmcnt(0) lgkmcnt(28)
	v_mul_f64 v[112:113], v[118:119], v[145:146]
	v_fma_f64 v[114:115], v[116:117], v[143:144], v[112:113]
	v_mul_f64 v[112:113], v[116:117], v[145:146]
	v_fma_f64 v[112:113], v[118:119], v[143:144], -v[112:113]
	global_load_dwordx4 v[143:146], v[136:137], off offset:608
	s_waitcnt vmcnt(0) lgkmcnt(26)
	v_mul_f64 v[116:117], v[134:135], v[145:146]
	v_mul_f64 v[118:119], v[132:133], v[145:146]
	v_fma_f64 v[116:117], v[132:133], v[143:144], v[116:117]
	v_fma_f64 v[118:119], v[134:135], v[143:144], -v[118:119]
	global_load_dwordx4 v[143:146], v[147:148], off offset:96
	s_waitcnt vmcnt(0) lgkmcnt(24)
	v_mul_f64 v[132:133], v[110:111], v[145:146]
	v_fma_f64 v[134:135], v[108:109], v[143:144], v[132:133]
	v_mul_f64 v[108:109], v[108:109], v[145:146]
	v_fma_f64 v[132:133], v[110:111], v[143:144], -v[108:109]
	global_load_dwordx4 v[143:146], v[147:148], off offset:1632
	s_waitcnt vmcnt(0) lgkmcnt(22)
	v_mul_f64 v[108:109], v[106:107], v[145:146]
	v_fma_f64 v[110:111], v[104:105], v[143:144], v[108:109]
	v_mul_f64 v[104:105], v[104:105], v[145:146]
	v_fma_f64 v[108:109], v[106:107], v[143:144], -v[104:105]
	v_add_co_u32 v104, s0, 0x2800, v130
	v_add_co_ci_u32_e64 v105, s0, 0, v131, s0
	v_add_co_u32 v149, s0, 0x4800, v139
	v_add_co_ci_u32_e64 v150, s0, 0, v140, s0
	global_load_dwordx4 v[143:146], v[104:105], off offset:1120
	v_add_co_u32 v151, s0, 0x5000, v139
	v_add_co_ci_u32_e64 v152, s0, 0, v140, s0
	v_cmp_gt_u32_e64 s0, 48, v120
	s_waitcnt vmcnt(0) lgkmcnt(20)
	v_mul_f64 v[104:105], v[102:103], v[145:146]
	v_fma_f64 v[106:107], v[100:101], v[143:144], v[104:105]
	v_mul_f64 v[100:101], v[100:101], v[145:146]
	v_fma_f64 v[104:105], v[102:103], v[143:144], -v[100:101]
	global_load_dwordx4 v[143:146], v[149:150], off offset:608
	s_waitcnt vmcnt(0) lgkmcnt(18)
	v_mul_f64 v[100:101], v[98:99], v[145:146]
	v_fma_f64 v[102:103], v[96:97], v[143:144], v[100:101]
	v_mul_f64 v[96:97], v[96:97], v[145:146]
	v_fma_f64 v[100:101], v[98:99], v[143:144], -v[96:97]
	global_load_dwordx4 v[143:146], v[151:152], off offset:96
	s_waitcnt vmcnt(0) lgkmcnt(16)
	v_mul_f64 v[96:97], v[94:95], v[145:146]
	v_fma_f64 v[96:97], v[92:93], v[143:144], v[96:97]
	v_mul_f64 v[92:93], v[92:93], v[145:146]
	v_fma_f64 v[94:95], v[94:95], v[143:144], -v[92:93]
	v_subrev_nc_u32_e32 v92, 48, v120
	v_mov_b32_e32 v93, v121
	v_cndmask_b32_e64 v92, v92, v171, s0
	v_lshlrev_b64 v[98:99], 4, v[92:93]
	v_add_co_u32 v93, s0, s12, v98
	v_add_co_ci_u32_e64 v99, s0, s13, v99, s0
	v_add_co_u32 v98, s0, 0x2800, v93
	v_add_co_ci_u32_e64 v99, s0, 0, v99, s0
	global_load_dwordx4 v[143:146], v[98:99], off offset:1120
	s_waitcnt vmcnt(0) lgkmcnt(14)
	v_mul_f64 v[98:99], v[90:91], v[145:146]
	v_fma_f64 v[98:99], v[88:89], v[143:144], v[98:99]
	v_mul_f64 v[88:89], v[88:89], v[145:146]
	v_fma_f64 v[90:91], v[90:91], v[143:144], -v[88:89]
	v_add_co_u32 v88, s0, 0x2800, v139
	v_add_co_ci_u32_e64 v89, s0, 0, v140, s0
	global_load_dwordx4 v[143:146], v[88:89], off offset:1888
	s_waitcnt vmcnt(0) lgkmcnt(12)
	v_mul_f64 v[88:89], v[86:87], v[145:146]
	v_fma_f64 v[88:89], v[84:85], v[143:144], v[88:89]
	v_mul_f64 v[84:85], v[84:85], v[145:146]
	v_fma_f64 v[84:85], v[86:87], v[143:144], -v[84:85]
	global_load_dwordx4 v[143:146], v[136:137], off offset:1376
	s_waitcnt vmcnt(0) lgkmcnt(10)
	v_mul_f64 v[86:87], v[82:83], v[145:146]
	v_fma_f64 v[136:137], v[80:81], v[143:144], v[86:87]
	v_mul_f64 v[80:81], v[80:81], v[145:146]
	v_fma_f64 v[143:144], v[82:83], v[143:144], -v[80:81]
	global_load_dwordx4 v[80:83], v[147:148], off offset:864
	s_waitcnt vmcnt(0) lgkmcnt(8)
	v_mul_f64 v[86:87], v[78:79], v[82:83]
	v_fma_f64 v[145:146], v[76:77], v[80:81], v[86:87]
	v_mul_f64 v[76:77], v[76:77], v[82:83]
	v_add_f64 v[86:87], v[24:25], -v[88:89]
	v_add_f64 v[88:89], v[26:27], -v[84:85]
	v_fma_f64 v[147:148], v[78:79], v[80:81], -v[76:77]
	v_add_co_u32 v80, s0, 0x4000, v139
	v_add_co_ci_u32_e64 v81, s0, 0, v140, s0
	v_fma_f64 v[24:25], v[24:25], 2.0, -v[86:87]
	v_fma_f64 v[26:27], v[26:27], 2.0, -v[88:89]
	v_cmp_lt_u32_e64 s0, 47, v120
	global_load_dwordx4 v[76:79], v[80:81], off offset:352
	s_waitcnt vmcnt(0) lgkmcnt(6)
	v_mul_f64 v[82:83], v[74:75], v[78:79]
	v_fma_f64 v[153:154], v[72:73], v[76:77], v[82:83]
	v_mul_f64 v[72:73], v[72:73], v[78:79]
	v_add_f64 v[78:79], v[42:43], -v[104:105]
	v_add_f64 v[82:83], v[38:39], -v[100:101]
	;; [unrolled: 1-line block ×4, first 2 shown]
	v_fma_f64 v[155:156], v[74:75], v[76:77], -v[72:73]
	global_load_dwordx4 v[72:75], v[80:81], off offset:1888
	v_add_f64 v[80:81], v[36:37], -v[102:103]
	v_add_f64 v[102:103], v[34:35], -v[94:95]
	v_add_f64 v[93:94], v[28:29], -v[98:99]
	v_add_f64 v[95:96], v[30:31], -v[90:91]
	v_fma_f64 v[42:43], v[42:43], 2.0, -v[78:79]
	v_fma_f64 v[38:39], v[38:39], 2.0, -v[82:83]
	;; [unrolled: 1-line block ×8, first 2 shown]
	s_waitcnt vmcnt(0) lgkmcnt(4)
	v_mul_f64 v[76:77], v[70:71], v[74:75]
	v_fma_f64 v[157:158], v[68:69], v[72:73], v[76:77]
	v_mul_f64 v[68:69], v[68:69], v[74:75]
	v_add_f64 v[74:75], v[46:47], -v[108:109]
	v_add_f64 v[76:77], v[40:41], -v[106:107]
	;; [unrolled: 1-line block ×4, first 2 shown]
	v_fma_f64 v[159:160], v[70:71], v[72:73], -v[68:69]
	global_load_dwordx4 v[68:71], v[149:150], off offset:1376
	v_fma_f64 v[46:47], v[46:47], 2.0, -v[74:75]
	v_fma_f64 v[40:41], v[40:41], 2.0, -v[76:77]
	;; [unrolled: 1-line block ×4, first 2 shown]
	s_waitcnt vmcnt(0) lgkmcnt(2)
	v_mul_f64 v[72:73], v[66:67], v[70:71]
	v_fma_f64 v[149:150], v[64:65], v[68:69], v[72:73]
	v_mul_f64 v[64:65], v[64:65], v[70:71]
	v_add_f64 v[70:71], v[50:51], -v[132:133]
	v_add_f64 v[72:73], v[44:45], -v[110:111]
	;; [unrolled: 1-line block ×4, first 2 shown]
	v_fma_f64 v[161:162], v[66:67], v[68:69], -v[64:65]
	global_load_dwordx4 v[64:67], v[151:152], off offset:864
	v_fma_f64 v[50:51], v[50:51], 2.0, -v[70:71]
	v_fma_f64 v[44:45], v[44:45], 2.0, -v[72:73]
	;; [unrolled: 1-line block ×3, first 2 shown]
	s_waitcnt vmcnt(0) lgkmcnt(0)
	s_barrier
	buffer_gl0_inv
	v_fma_f64 v[4:5], v[4:5], 2.0, -v[132:133]
	v_mul_f64 v[68:69], v[62:63], v[66:67]
	v_fma_f64 v[151:152], v[60:61], v[64:65], v[68:69]
	v_mul_f64 v[60:61], v[60:61], v[66:67]
	v_add_f64 v[66:67], v[54:55], -v[118:119]
	v_add_f64 v[68:69], v[48:49], -v[134:135]
	;; [unrolled: 1-line block ×5, first 2 shown]
	v_fma_f64 v[163:164], v[62:63], v[64:65], -v[60:61]
	v_add_f64 v[60:61], v[56:57], -v[114:115]
	v_add_f64 v[62:63], v[58:59], -v[112:113]
	;; [unrolled: 1-line block ×6, first 2 shown]
	v_fma_f64 v[54:55], v[54:55], 2.0, -v[66:67]
	v_fma_f64 v[48:49], v[48:49], 2.0, -v[68:69]
	v_fma_f64 v[10:11], v[10:11], 2.0, -v[118:119]
	v_fma_f64 v[6:7], v[6:7], 2.0, -v[134:135]
	v_fma_f64 v[0:1], v[0:1], 2.0, -v[143:144]
	v_add_f64 v[145:146], v[2:3], -v[163:164]
	v_fma_f64 v[56:57], v[56:57], 2.0, -v[60:61]
	v_fma_f64 v[58:59], v[58:59], 2.0, -v[62:63]
	;; [unrolled: 1-line block ×6, first 2 shown]
	ds_write_b128 v170, v[56:59]
	ds_write_b128 v170, v[60:63] offset:11520
	ds_write_b128 v170, v[52:55] offset:1536
	;; [unrolled: 1-line block ×13, first 2 shown]
	v_cndmask_b32_e64 v32, 0, 0x5a00, s0
	v_lshlrev_b32_e32 v33, 4, v92
	v_fma_f64 v[2:3], v[2:3], 2.0, -v[145:146]
	v_add3_u32 v32, 0, v32, v33
	ds_write_b128 v32, v[28:31]
	ds_write_b128 v32, v[93:96] offset:11520
	ds_write_b128 v170, v[24:27] offset:23808
	;; [unrolled: 1-line block ×15, first 2 shown]
	v_add_co_u32 v132, s0, 0x5800, v141
	v_add_co_ci_u32_e64 v133, s0, 0, v142, s0
	s_waitcnt lgkmcnt(0)
	s_barrier
	buffer_gl0_inv
	ds_read_b128 v[56:59], v170
	ds_read_b128 v[112:115], v170 offset:23040
	ds_read_b128 v[52:55], v170 offset:1536
	ds_read_b128 v[116:119], v170 offset:24576
	ds_read_b128 v[48:51], v170 offset:3072
	ds_read_b128 v[108:111], v170 offset:26112
	ds_read_b128 v[44:47], v170 offset:4608
	ds_read_b128 v[104:107], v170 offset:27648
	ds_read_b128 v[40:43], v170 offset:6144
	ds_read_b128 v[100:103], v170 offset:29184
	ds_read_b128 v[36:39], v170 offset:7680
	ds_read_b128 v[96:99], v170 offset:30720
	ds_read_b128 v[32:35], v170 offset:9216
	ds_read_b128 v[92:95], v170 offset:32256
	ds_read_b128 v[28:31], v170 offset:10752
	ds_read_b128 v[88:91], v170 offset:33792
	ds_read_b128 v[24:27], v170 offset:12288
	ds_read_b128 v[84:87], v170 offset:35328
	ds_read_b128 v[20:23], v170 offset:13824
	ds_read_b128 v[80:83], v170 offset:36864
	ds_read_b128 v[16:19], v170 offset:15360
	ds_read_b128 v[76:79], v170 offset:38400
	ds_read_b128 v[12:15], v170 offset:16896
	ds_read_b128 v[72:75], v170 offset:39936
	ds_read_b128 v[8:11], v170 offset:18432
	ds_read_b128 v[68:71], v170 offset:41472
	ds_read_b128 v[4:7], v170 offset:19968
	ds_read_b128 v[64:67], v170 offset:43008
	ds_read_b128 v[0:3], v170 offset:21504
	ds_read_b128 v[60:63], v170 offset:44544
	global_load_dwordx4 v[132:135], v[132:133], off offset:352
	s_waitcnt vmcnt(0) lgkmcnt(28)
	v_mul_f64 v[136:137], v[114:115], v[134:135]
	v_fma_f64 v[136:137], v[112:113], v[132:133], v[136:137]
	v_mul_f64 v[112:113], v[112:113], v[134:135]
	v_fma_f64 v[132:133], v[114:115], v[132:133], -v[112:113]
	v_add_co_u32 v112, s0, 0x5800, v139
	v_add_co_ci_u32_e64 v113, s0, 0, v140, s0
	global_load_dwordx4 v[112:115], v[112:113], off offset:1888
	s_waitcnt vmcnt(0) lgkmcnt(26)
	v_mul_f64 v[134:135], v[118:119], v[114:115]
	v_mul_f64 v[114:115], v[116:117], v[114:115]
	v_fma_f64 v[134:135], v[116:117], v[112:113], v[134:135]
	v_fma_f64 v[116:117], v[118:119], v[112:113], -v[114:115]
	v_add_co_u32 v112, s0, 0x6000, v139
	v_add_co_ci_u32_e64 v113, s0, 0, v140, s0
	global_load_dwordx4 v[112:115], v[112:113], off offset:1376
	s_waitcnt vmcnt(0) lgkmcnt(24)
	v_mul_f64 v[118:119], v[110:111], v[114:115]
	v_fma_f64 v[118:119], v[108:109], v[112:113], v[118:119]
	v_mul_f64 v[108:109], v[108:109], v[114:115]
	v_fma_f64 v[112:113], v[110:111], v[112:113], -v[108:109]
	v_add_co_u32 v108, s0, 0x6800, v139
	v_add_co_ci_u32_e64 v109, s0, 0, v140, s0
	global_load_dwordx4 v[108:111], v[108:109], off offset:864
	s_waitcnt vmcnt(0) lgkmcnt(22)
	v_mul_f64 v[114:115], v[106:107], v[110:111]
	v_fma_f64 v[114:115], v[104:105], v[108:109], v[114:115]
	v_mul_f64 v[104:105], v[104:105], v[110:111]
	;; [unrolled: 8-line block ×6, first 2 shown]
	v_fma_f64 v[92:93], v[90:91], v[92:93], -v[88:89]
	v_add_co_u32 v88, s0, s12, v126
	v_add_co_ci_u32_e64 v89, s0, s13, v127, s0
	v_add_co_u32 v88, s0, 0x5800, v88
	v_add_co_ci_u32_e64 v89, s0, 0, v89, s0
	global_load_dwordx4 v[88:91], v[88:89], off offset:352
	s_waitcnt vmcnt(0) lgkmcnt(12)
	v_mul_f64 v[94:95], v[86:87], v[90:91]
	v_fma_f64 v[94:95], v[84:85], v[88:89], v[94:95]
	v_mul_f64 v[84:85], v[84:85], v[90:91]
	v_add_f64 v[90:91], v[30:31], -v[92:93]
	v_add_f64 v[92:93], v[24:25], -v[94:95]
	v_fma_f64 v[126:127], v[86:87], v[88:89], -v[84:85]
	v_add_co_u32 v84, s0, 0x8800, v139
	v_add_co_ci_u32_e64 v85, s0, 0, v140, s0
	v_fma_f64 v[30:31], v[30:31], 2.0, -v[90:91]
	global_load_dwordx4 v[84:87], v[84:85], off offset:1888
	v_fma_f64 v[24:25], v[24:25], 2.0, -v[92:93]
	v_add_f64 v[94:95], v[26:27], -v[126:127]
	v_fma_f64 v[26:27], v[26:27], 2.0, -v[94:95]
	s_waitcnt vmcnt(0) lgkmcnt(10)
	v_mul_f64 v[88:89], v[82:83], v[86:87]
	v_fma_f64 v[130:131], v[80:81], v[84:85], v[88:89]
	v_mul_f64 v[80:81], v[80:81], v[86:87]
	v_add_f64 v[86:87], v[34:35], -v[96:97]
	v_add_f64 v[88:89], v[28:29], -v[98:99]
	v_add_f64 v[96:97], v[20:21], -v[130:131]
	v_fma_f64 v[141:142], v[82:83], v[84:85], -v[80:81]
	v_add_co_u32 v80, s0, 0x9000, v139
	v_add_co_ci_u32_e64 v81, s0, 0, v140, s0
	v_fma_f64 v[34:35], v[34:35], 2.0, -v[86:87]
	v_fma_f64 v[28:29], v[28:29], 2.0, -v[88:89]
	global_load_dwordx4 v[80:83], v[80:81], off offset:1376
	v_fma_f64 v[20:21], v[20:21], 2.0, -v[96:97]
	v_add_f64 v[98:99], v[22:23], -v[141:142]
	v_fma_f64 v[22:23], v[22:23], 2.0, -v[98:99]
	s_waitcnt vmcnt(0) lgkmcnt(8)
	v_mul_f64 v[84:85], v[78:79], v[82:83]
	v_fma_f64 v[143:144], v[76:77], v[80:81], v[84:85]
	v_mul_f64 v[76:77], v[76:77], v[82:83]
	v_add_f64 v[82:83], v[38:39], -v[100:101]
	v_add_f64 v[84:85], v[32:33], -v[102:103]
	v_add_f64 v[100:101], v[16:17], -v[143:144]
	v_fma_f64 v[145:146], v[78:79], v[80:81], -v[76:77]
	v_add_co_u32 v76, s0, 0x9800, v139
	v_add_co_ci_u32_e64 v77, s0, 0, v140, s0
	v_fma_f64 v[38:39], v[38:39], 2.0, -v[82:83]
	;; [unrolled: 16-line block ×3, first 2 shown]
	v_add_co_u32 v72, s0, 0x5800, v72
	v_add_co_ci_u32_e64 v73, s0, 0, v73, s0
	v_fma_f64 v[36:37], v[36:37], 2.0, -v[80:81]
	global_load_dwordx4 v[72:75], v[72:73], off offset:352
	v_fma_f64 v[12:13], v[12:13], 2.0, -v[104:105]
	v_add_f64 v[106:107], v[14:15], -v[149:150]
	v_fma_f64 v[14:15], v[14:15], 2.0, -v[106:107]
	s_waitcnt vmcnt(0) lgkmcnt(4)
	v_mul_f64 v[76:77], v[70:71], v[74:75]
	v_fma_f64 v[128:129], v[68:69], v[72:73], v[76:77]
	v_mul_f64 v[68:69], v[68:69], v[74:75]
	v_add_f64 v[74:75], v[46:47], -v[108:109]
	v_add_f64 v[76:77], v[40:41], -v[110:111]
	;; [unrolled: 1-line block ×3, first 2 shown]
	v_fma_f64 v[151:152], v[70:71], v[72:73], -v[68:69]
	v_add_co_u32 v68, s0, 0xa000, v139
	v_add_co_ci_u32_e64 v69, s0, 0, v140, s0
	v_fma_f64 v[46:47], v[46:47], 2.0, -v[74:75]
	v_fma_f64 v[40:41], v[40:41], 2.0, -v[76:77]
	global_load_dwordx4 v[68:71], v[68:69], off offset:1888
	v_fma_f64 v[8:9], v[8:9], 2.0, -v[108:109]
	v_add_f64 v[110:111], v[10:11], -v[151:152]
	v_fma_f64 v[10:11], v[10:11], 2.0, -v[110:111]
	s_waitcnt vmcnt(0) lgkmcnt(2)
	v_mul_f64 v[72:73], v[66:67], v[70:71]
	v_fma_f64 v[153:154], v[64:65], v[68:69], v[72:73]
	v_mul_f64 v[64:65], v[64:65], v[70:71]
	v_add_f64 v[70:71], v[50:51], -v[112:113]
	v_add_f64 v[72:73], v[44:45], -v[114:115]
	;; [unrolled: 1-line block ×3, first 2 shown]
	v_fma_f64 v[155:156], v[66:67], v[68:69], -v[64:65]
	v_add_co_u32 v64, s0, 0xa800, v139
	v_add_co_ci_u32_e64 v65, s0, 0, v140, s0
	v_fma_f64 v[50:51], v[50:51], 2.0, -v[70:71]
	v_fma_f64 v[44:45], v[44:45], 2.0, -v[72:73]
	global_load_dwordx4 v[64:67], v[64:65], off offset:1376
	s_waitcnt vmcnt(0) lgkmcnt(0)
	s_barrier
	buffer_gl0_inv
	v_fma_f64 v[4:5], v[4:5], 2.0, -v[112:113]
	v_add_f64 v[114:115], v[6:7], -v[155:156]
	v_fma_f64 v[6:7], v[6:7], 2.0, -v[114:115]
	v_mul_f64 v[68:69], v[62:63], v[66:67]
	v_fma_f64 v[138:139], v[60:61], v[64:65], v[68:69]
	v_mul_f64 v[60:61], v[60:61], v[66:67]
	v_add_f64 v[66:67], v[54:55], -v[116:117]
	v_add_f64 v[68:69], v[48:49], -v[118:119]
	;; [unrolled: 1-line block ×3, first 2 shown]
	v_fma_f64 v[157:158], v[62:63], v[64:65], -v[60:61]
	v_add_f64 v[60:61], v[56:57], -v[136:137]
	v_add_f64 v[62:63], v[58:59], -v[132:133]
	;; [unrolled: 1-line block ×3, first 2 shown]
	v_fma_f64 v[54:55], v[54:55], 2.0, -v[66:67]
	v_fma_f64 v[48:49], v[48:49], 2.0, -v[68:69]
	;; [unrolled: 1-line block ×3, first 2 shown]
	v_add_f64 v[118:119], v[2:3], -v[157:158]
	v_fma_f64 v[56:57], v[56:57], 2.0, -v[60:61]
	v_fma_f64 v[58:59], v[58:59], 2.0, -v[62:63]
	;; [unrolled: 1-line block ×4, first 2 shown]
	ds_write_b128 v170, v[56:59]
	ds_write_b128 v170, v[60:63] offset:23040
	ds_write_b128 v170, v[52:55] offset:1536
	;; [unrolled: 1-line block ×29, first 2 shown]
	s_waitcnt lgkmcnt(0)
	s_barrier
	buffer_gl0_inv
	s_and_saveexec_b32 s0, vcc_lo
	s_cbranch_execz .LBB0_21
; %bb.20:
	v_mul_lo_u32 v2, s3, v124
	v_mul_lo_u32 v3, s2, v125
	v_mad_u64_u32 v[0:1], null, s2, v124, 0
	v_lshlrev_b64 v[12:13], 4, v[122:123]
	v_lshl_add_u32 v30, v120, 4, 0
	v_add_nc_u32_e32 v8, 0x60, v120
	v_mov_b32_e32 v9, v121
	v_lshlrev_b64 v[14:15], 4, v[120:121]
	v_add_nc_u32_e32 v16, 0xc0, v120
	v_add3_u32 v1, v1, v3, v2
	v_mov_b32_e32 v17, v121
	v_lshlrev_b64 v[18:19], 4, v[8:9]
	v_add_nc_u32_e32 v26, 0x120, v120
	v_mov_b32_e32 v27, v121
	v_lshlrev_b64 v[10:11], 4, v[0:1]
	ds_read_b128 v[0:3], v30
	ds_read_b128 v[4:7], v30 offset:1536
	v_add_nc_u32_e32 v28, 0x180, v120
	v_mov_b32_e32 v29, v121
	v_lshlrev_b64 v[26:27], 4, v[26:27]
	v_add_co_u32 v20, vcc_lo, s10, v10
	v_add_co_ci_u32_e32 v21, vcc_lo, s11, v11, vcc_lo
	ds_read_b128 v[8:11], v30 offset:3072
	v_add_co_u32 v31, vcc_lo, v20, v12
	v_add_co_ci_u32_e32 v32, vcc_lo, v21, v13, vcc_lo
	v_lshlrev_b64 v[12:13], 4, v[16:17]
	v_add_co_u32 v20, vcc_lo, v31, v14
	v_add_co_ci_u32_e32 v21, vcc_lo, v32, v15, vcc_lo
	v_add_co_u32 v22, vcc_lo, v31, v18
	v_add_co_ci_u32_e32 v23, vcc_lo, v32, v19, vcc_lo
	;; [unrolled: 2-line block ×3, first 2 shown]
	ds_read_b128 v[12:15], v30 offset:4608
	ds_read_b128 v[16:19], v30 offset:6144
	s_waitcnt lgkmcnt(4)
	global_store_dwordx4 v[20:21], v[0:3], off
	s_waitcnt lgkmcnt(3)
	global_store_dwordx4 v[22:23], v[4:7], off
	;; [unrolled: 2-line block ×3, first 2 shown]
	v_lshlrev_b64 v[0:1], 4, v[28:29]
	v_add_co_u32 v2, vcc_lo, v31, v26
	v_add_co_ci_u32_e32 v3, vcc_lo, v32, v27, vcc_lo
	v_add_nc_u32_e32 v6, 0x1e0, v120
	v_add_co_u32 v4, vcc_lo, v31, v0
	v_add_co_ci_u32_e32 v5, vcc_lo, v32, v1, vcc_lo
	v_mov_b32_e32 v7, v121
	v_add_nc_u32_e32 v8, 0x240, v120
	v_mov_b32_e32 v9, v121
	v_add_nc_u32_e32 v24, 0x300, v120
	;; [unrolled: 2-line block ×3, first 2 shown]
	s_waitcnt lgkmcnt(1)
	global_store_dwordx4 v[2:3], v[12:15], off
	s_waitcnt lgkmcnt(0)
	global_store_dwordx4 v[4:5], v[16:19], off
	v_lshlrev_b64 v[12:13], 4, v[6:7]
	ds_read_b128 v[0:3], v30 offset:7680
	v_lshlrev_b64 v[14:15], 4, v[8:9]
	v_add_nc_u32_e32 v16, 0x2a0, v120
	v_mov_b32_e32 v17, v121
	ds_read_b128 v[4:7], v30 offset:9216
	ds_read_b128 v[8:11], v30 offset:10752
	v_add_co_u32 v20, vcc_lo, v31, v12
	v_add_co_ci_u32_e32 v21, vcc_lo, v32, v13, vcc_lo
	v_lshlrev_b64 v[16:17], 4, v[16:17]
	v_add_co_u32 v22, vcc_lo, v31, v14
	v_add_co_ci_u32_e32 v23, vcc_lo, v32, v15, vcc_lo
	ds_read_b128 v[12:15], v30 offset:12288
	v_add_co_u32 v26, vcc_lo, v31, v16
	v_add_co_ci_u32_e32 v27, vcc_lo, v32, v17, vcc_lo
	ds_read_b128 v[16:19], v30 offset:13824
	v_lshlrev_b64 v[24:25], 4, v[24:25]
	s_waitcnt lgkmcnt(4)
	global_store_dwordx4 v[20:21], v[0:3], off
	s_waitcnt lgkmcnt(3)
	global_store_dwordx4 v[22:23], v[4:7], off
	;; [unrolled: 2-line block ×3, first 2 shown]
	v_lshlrev_b64 v[0:1], 4, v[28:29]
	v_add_co_u32 v2, vcc_lo, v31, v24
	v_add_co_ci_u32_e32 v3, vcc_lo, v32, v25, vcc_lo
	v_add_nc_u32_e32 v4, 0x3c0, v120
	v_add_co_u32 v0, vcc_lo, v31, v0
	v_mov_b32_e32 v5, v121
	v_add_co_ci_u32_e32 v1, vcc_lo, v32, v1, vcc_lo
	s_waitcnt lgkmcnt(1)
	global_store_dwordx4 v[2:3], v[12:15], off
	v_add_nc_u32_e32 v8, 0x420, v120
	v_mov_b32_e32 v9, v121
	v_lshlrev_b64 v[12:13], 4, v[4:5]
	s_waitcnt lgkmcnt(0)
	global_store_dwordx4 v[0:1], v[16:19], off
	ds_read_b128 v[0:3], v30 offset:15360
	ds_read_b128 v[4:7], v30 offset:16896
	v_add_nc_u32_e32 v16, 0x480, v120
	v_mov_b32_e32 v17, v121
	v_lshlrev_b64 v[14:15], 4, v[8:9]
	ds_read_b128 v[8:11], v30 offset:18432
	v_add_co_u32 v20, vcc_lo, v31, v12
	v_add_co_ci_u32_e32 v21, vcc_lo, v32, v13, vcc_lo
	v_lshlrev_b64 v[12:13], 4, v[16:17]
	v_add_co_u32 v22, vcc_lo, v31, v14
	v_add_co_ci_u32_e32 v23, vcc_lo, v32, v15, vcc_lo
	v_add_nc_u32_e32 v26, 0x4e0, v120
	v_add_co_u32 v24, vcc_lo, v31, v12
	v_mov_b32_e32 v27, v121
	v_add_co_ci_u32_e32 v25, vcc_lo, v32, v13, vcc_lo
	ds_read_b128 v[12:15], v30 offset:19968
	ds_read_b128 v[16:19], v30 offset:21504
	v_add_nc_u32_e32 v28, 0x540, v120
	v_lshlrev_b64 v[26:27], 4, v[26:27]
	s_waitcnt lgkmcnt(4)
	global_store_dwordx4 v[20:21], v[0:3], off
	s_waitcnt lgkmcnt(3)
	global_store_dwordx4 v[22:23], v[4:7], off
	s_waitcnt lgkmcnt(2)
	global_store_dwordx4 v[24:25], v[8:11], off
	v_add_nc_u32_e32 v6, 0x5a0, v120
	v_mov_b32_e32 v7, v121
	v_lshlrev_b64 v[0:1], 4, v[28:29]
	v_add_nc_u32_e32 v8, 0x600, v120
	v_add_co_u32 v2, vcc_lo, v31, v26
	v_add_co_ci_u32_e32 v3, vcc_lo, v32, v27, vcc_lo
	v_add_co_u32 v4, vcc_lo, v31, v0
	v_add_co_ci_u32_e32 v5, vcc_lo, v32, v1, vcc_lo
	v_mov_b32_e32 v9, v121
	v_add_nc_u32_e32 v24, 0x6c0, v120
	v_mov_b32_e32 v25, v121
	s_waitcnt lgkmcnt(1)
	global_store_dwordx4 v[2:3], v[12:15], off
	s_waitcnt lgkmcnt(0)
	global_store_dwordx4 v[4:5], v[16:19], off
	v_lshlrev_b64 v[12:13], 4, v[6:7]
	ds_read_b128 v[0:3], v30 offset:23040
	v_lshlrev_b64 v[14:15], 4, v[8:9]
	v_add_nc_u32_e32 v16, 0x660, v120
	v_mov_b32_e32 v17, v121
	ds_read_b128 v[4:7], v30 offset:24576
	ds_read_b128 v[8:11], v30 offset:26112
	v_add_co_u32 v20, vcc_lo, v31, v12
	v_add_co_ci_u32_e32 v21, vcc_lo, v32, v13, vcc_lo
	v_lshlrev_b64 v[16:17], 4, v[16:17]
	v_add_co_u32 v22, vcc_lo, v31, v14
	v_add_co_ci_u32_e32 v23, vcc_lo, v32, v15, vcc_lo
	ds_read_b128 v[12:15], v30 offset:27648
	v_add_co_u32 v26, vcc_lo, v31, v16
	v_add_co_ci_u32_e32 v27, vcc_lo, v32, v17, vcc_lo
	ds_read_b128 v[16:19], v30 offset:29184
	v_add_nc_u32_e32 v28, 0x720, v120
	v_lshlrev_b64 v[24:25], 4, v[24:25]
	s_waitcnt lgkmcnt(4)
	global_store_dwordx4 v[20:21], v[0:3], off
	s_waitcnt lgkmcnt(3)
	global_store_dwordx4 v[22:23], v[4:7], off
	;; [unrolled: 2-line block ×3, first 2 shown]
	v_lshlrev_b64 v[0:1], 4, v[28:29]
	v_add_nc_u32_e32 v4, 0x780, v120
	v_add_co_u32 v2, vcc_lo, v31, v24
	v_add_co_ci_u32_e32 v3, vcc_lo, v32, v25, vcc_lo
	v_add_co_u32 v0, vcc_lo, v31, v0
	v_add_co_ci_u32_e32 v1, vcc_lo, v32, v1, vcc_lo
	v_mov_b32_e32 v5, v121
	v_add_nc_u32_e32 v8, 0x7e0, v120
	v_mov_b32_e32 v9, v121
	s_waitcnt lgkmcnt(1)
	global_store_dwordx4 v[2:3], v[12:15], off
	s_waitcnt lgkmcnt(0)
	global_store_dwordx4 v[0:1], v[16:19], off
	v_lshlrev_b64 v[12:13], 4, v[4:5]
	ds_read_b128 v[0:3], v30 offset:30720
	ds_read_b128 v[4:7], v30 offset:32256
	v_lshlrev_b64 v[14:15], 4, v[8:9]
	ds_read_b128 v[8:11], v30 offset:33792
	v_add_nc_u32_e32 v16, 0x840, v120
	v_mov_b32_e32 v17, v121
	v_add_co_u32 v20, vcc_lo, v31, v12
	v_add_co_ci_u32_e32 v21, vcc_lo, v32, v13, vcc_lo
	v_lshlrev_b64 v[12:13], 4, v[16:17]
	v_add_nc_u32_e32 v16, 0x8a0, v120
	v_add_co_u32 v22, vcc_lo, v31, v14
	v_add_co_ci_u32_e32 v23, vcc_lo, v32, v15, vcc_lo
	v_lshlrev_b64 v[26:27], 4, v[16:17]
	ds_read_b128 v[16:19], v30 offset:36864
	v_add_co_u32 v24, vcc_lo, v31, v12
	v_add_nc_u32_e32 v28, 0x900, v120
	v_add_co_ci_u32_e32 v25, vcc_lo, v32, v13, vcc_lo
	ds_read_b128 v[12:15], v30 offset:35328
	s_waitcnt lgkmcnt(4)
	global_store_dwordx4 v[20:21], v[0:3], off
	s_waitcnt lgkmcnt(3)
	global_store_dwordx4 v[22:23], v[4:7], off
	;; [unrolled: 2-line block ×3, first 2 shown]
	v_lshlrev_b64 v[0:1], 4, v[28:29]
	v_add_co_u32 v2, vcc_lo, v31, v26
	v_add_co_ci_u32_e32 v3, vcc_lo, v32, v27, vcc_lo
	v_add_nc_u32_e32 v4, 0x960, v120
	v_mov_b32_e32 v5, v121
	v_add_co_u32 v6, vcc_lo, v31, v0
	v_add_co_ci_u32_e32 v7, vcc_lo, v32, v1, vcc_lo
	v_add_nc_u32_e32 v8, 0x9c0, v120
	v_mov_b32_e32 v9, v121
	v_lshlrev_b64 v[4:5], 4, v[4:5]
	s_waitcnt lgkmcnt(1)
	global_store_dwordx4 v[6:7], v[16:19], off
	v_add_nc_u32_e32 v24, 0xa80, v120
	v_mov_b32_e32 v25, v121
	v_lshlrev_b64 v[6:7], 4, v[8:9]
	s_waitcnt lgkmcnt(0)
	global_store_dwordx4 v[2:3], v[12:15], off
	v_add_co_u32 v20, vcc_lo, v31, v4
	v_add_nc_u32_e32 v12, 0xa20, v120
	v_mov_b32_e32 v13, v121
	v_add_co_ci_u32_e32 v21, vcc_lo, v32, v5, vcc_lo
	v_add_co_u32 v22, vcc_lo, v31, v6
	ds_read_b128 v[0:3], v30 offset:38400
	v_add_co_ci_u32_e32 v23, vcc_lo, v32, v7, vcc_lo
	ds_read_b128 v[4:7], v30 offset:39936
	ds_read_b128 v[8:11], v30 offset:41472
	v_lshlrev_b64 v[26:27], 4, v[12:13]
	ds_read_b128 v[12:15], v30 offset:43008
	ds_read_b128 v[16:19], v30 offset:44544
	v_add_nc_u32_e32 v120, 0xae0, v120
	v_lshlrev_b64 v[24:25], 4, v[24:25]
	v_add_co_u32 v26, vcc_lo, v31, v26
	v_lshlrev_b64 v[28:29], 4, v[120:121]
	v_add_co_ci_u32_e32 v27, vcc_lo, v32, v27, vcc_lo
	v_add_co_u32 v24, vcc_lo, v31, v24
	v_add_co_ci_u32_e32 v25, vcc_lo, v32, v25, vcc_lo
	v_add_co_u32 v28, vcc_lo, v31, v28
	v_add_co_ci_u32_e32 v29, vcc_lo, v32, v29, vcc_lo
	s_waitcnt lgkmcnt(4)
	global_store_dwordx4 v[20:21], v[0:3], off
	s_waitcnt lgkmcnt(3)
	global_store_dwordx4 v[22:23], v[4:7], off
	s_waitcnt lgkmcnt(2)
	global_store_dwordx4 v[26:27], v[8:11], off
	s_waitcnt lgkmcnt(1)
	global_store_dwordx4 v[24:25], v[12:15], off
	s_waitcnt lgkmcnt(0)
	global_store_dwordx4 v[28:29], v[16:19], off
.LBB0_21:
	s_endpgm
	.section	.rodata,"a",@progbits
	.p2align	6, 0x0
	.amdhsa_kernel fft_rtc_back_len2880_factors_10_6_6_2_2_2_wgs_96_tpt_96_halfLds_dp_op_CI_CI_unitstride_sbrr_C2R_dirReg
		.amdhsa_group_segment_fixed_size 0
		.amdhsa_private_segment_fixed_size 0
		.amdhsa_kernarg_size 104
		.amdhsa_user_sgpr_count 6
		.amdhsa_user_sgpr_private_segment_buffer 1
		.amdhsa_user_sgpr_dispatch_ptr 0
		.amdhsa_user_sgpr_queue_ptr 0
		.amdhsa_user_sgpr_kernarg_segment_ptr 1
		.amdhsa_user_sgpr_dispatch_id 0
		.amdhsa_user_sgpr_flat_scratch_init 0
		.amdhsa_user_sgpr_private_segment_size 0
		.amdhsa_wavefront_size32 1
		.amdhsa_uses_dynamic_stack 0
		.amdhsa_system_sgpr_private_segment_wavefront_offset 0
		.amdhsa_system_sgpr_workgroup_id_x 1
		.amdhsa_system_sgpr_workgroup_id_y 0
		.amdhsa_system_sgpr_workgroup_id_z 0
		.amdhsa_system_sgpr_workgroup_info 0
		.amdhsa_system_vgpr_workitem_id 0
		.amdhsa_next_free_vgpr 209
		.amdhsa_next_free_sgpr 27
		.amdhsa_reserve_vcc 1
		.amdhsa_reserve_flat_scratch 0
		.amdhsa_float_round_mode_32 0
		.amdhsa_float_round_mode_16_64 0
		.amdhsa_float_denorm_mode_32 3
		.amdhsa_float_denorm_mode_16_64 3
		.amdhsa_dx10_clamp 1
		.amdhsa_ieee_mode 1
		.amdhsa_fp16_overflow 0
		.amdhsa_workgroup_processor_mode 1
		.amdhsa_memory_ordered 1
		.amdhsa_forward_progress 0
		.amdhsa_shared_vgpr_count 0
		.amdhsa_exception_fp_ieee_invalid_op 0
		.amdhsa_exception_fp_denorm_src 0
		.amdhsa_exception_fp_ieee_div_zero 0
		.amdhsa_exception_fp_ieee_overflow 0
		.amdhsa_exception_fp_ieee_underflow 0
		.amdhsa_exception_fp_ieee_inexact 0
		.amdhsa_exception_int_div_zero 0
	.end_amdhsa_kernel
	.text
.Lfunc_end0:
	.size	fft_rtc_back_len2880_factors_10_6_6_2_2_2_wgs_96_tpt_96_halfLds_dp_op_CI_CI_unitstride_sbrr_C2R_dirReg, .Lfunc_end0-fft_rtc_back_len2880_factors_10_6_6_2_2_2_wgs_96_tpt_96_halfLds_dp_op_CI_CI_unitstride_sbrr_C2R_dirReg
                                        ; -- End function
	.section	.AMDGPU.csdata,"",@progbits
; Kernel info:
; codeLenInByte = 25504
; NumSgprs: 29
; NumVgprs: 209
; ScratchSize: 0
; MemoryBound: 0
; FloatMode: 240
; IeeeMode: 1
; LDSByteSize: 0 bytes/workgroup (compile time only)
; SGPRBlocks: 3
; VGPRBlocks: 26
; NumSGPRsForWavesPerEU: 29
; NumVGPRsForWavesPerEU: 209
; Occupancy: 4
; WaveLimiterHint : 1
; COMPUTE_PGM_RSRC2:SCRATCH_EN: 0
; COMPUTE_PGM_RSRC2:USER_SGPR: 6
; COMPUTE_PGM_RSRC2:TRAP_HANDLER: 0
; COMPUTE_PGM_RSRC2:TGID_X_EN: 1
; COMPUTE_PGM_RSRC2:TGID_Y_EN: 0
; COMPUTE_PGM_RSRC2:TGID_Z_EN: 0
; COMPUTE_PGM_RSRC2:TIDIG_COMP_CNT: 0
	.text
	.p2alignl 6, 3214868480
	.fill 48, 4, 3214868480
	.type	__hip_cuid_3297fd4a6efc6ddc,@object ; @__hip_cuid_3297fd4a6efc6ddc
	.section	.bss,"aw",@nobits
	.globl	__hip_cuid_3297fd4a6efc6ddc
__hip_cuid_3297fd4a6efc6ddc:
	.byte	0                               ; 0x0
	.size	__hip_cuid_3297fd4a6efc6ddc, 1

	.ident	"AMD clang version 19.0.0git (https://github.com/RadeonOpenCompute/llvm-project roc-6.4.0 25133 c7fe45cf4b819c5991fe208aaa96edf142730f1d)"
	.section	".note.GNU-stack","",@progbits
	.addrsig
	.addrsig_sym __hip_cuid_3297fd4a6efc6ddc
	.amdgpu_metadata
---
amdhsa.kernels:
  - .args:
      - .actual_access:  read_only
        .address_space:  global
        .offset:         0
        .size:           8
        .value_kind:     global_buffer
      - .offset:         8
        .size:           8
        .value_kind:     by_value
      - .actual_access:  read_only
        .address_space:  global
        .offset:         16
        .size:           8
        .value_kind:     global_buffer
      - .actual_access:  read_only
        .address_space:  global
        .offset:         24
        .size:           8
        .value_kind:     global_buffer
      - .actual_access:  read_only
        .address_space:  global
        .offset:         32
        .size:           8
        .value_kind:     global_buffer
      - .offset:         40
        .size:           8
        .value_kind:     by_value
      - .actual_access:  read_only
        .address_space:  global
        .offset:         48
        .size:           8
        .value_kind:     global_buffer
      - .actual_access:  read_only
        .address_space:  global
        .offset:         56
        .size:           8
        .value_kind:     global_buffer
      - .offset:         64
        .size:           4
        .value_kind:     by_value
      - .actual_access:  read_only
        .address_space:  global
        .offset:         72
        .size:           8
        .value_kind:     global_buffer
      - .actual_access:  read_only
        .address_space:  global
        .offset:         80
        .size:           8
        .value_kind:     global_buffer
      - .actual_access:  read_only
        .address_space:  global
        .offset:         88
        .size:           8
        .value_kind:     global_buffer
      - .actual_access:  write_only
        .address_space:  global
        .offset:         96
        .size:           8
        .value_kind:     global_buffer
    .group_segment_fixed_size: 0
    .kernarg_segment_align: 8
    .kernarg_segment_size: 104
    .language:       OpenCL C
    .language_version:
      - 2
      - 0
    .max_flat_workgroup_size: 96
    .name:           fft_rtc_back_len2880_factors_10_6_6_2_2_2_wgs_96_tpt_96_halfLds_dp_op_CI_CI_unitstride_sbrr_C2R_dirReg
    .private_segment_fixed_size: 0
    .sgpr_count:     29
    .sgpr_spill_count: 0
    .symbol:         fft_rtc_back_len2880_factors_10_6_6_2_2_2_wgs_96_tpt_96_halfLds_dp_op_CI_CI_unitstride_sbrr_C2R_dirReg.kd
    .uniform_work_group_size: 1
    .uses_dynamic_stack: false
    .vgpr_count:     209
    .vgpr_spill_count: 0
    .wavefront_size: 32
    .workgroup_processor_mode: 1
amdhsa.target:   amdgcn-amd-amdhsa--gfx1030
amdhsa.version:
  - 1
  - 2
...

	.end_amdgpu_metadata
